;; amdgpu-corpus repo=ggml-org/llama.cpp kind=compiled arch=gfx950 opt=O3
	.amdgcn_target "amdgcn-amd-amdhsa--gfx950"
	.amdhsa_code_object_version 6
	.section	.text._ZL10k_set_rowsIflfEvPKT_PKT0_PT1_llllllllllllll15HIP_vector_typeIjLj3EES9_S9_S9_S9_,"axG",@progbits,_ZL10k_set_rowsIflfEvPKT_PKT0_PT1_llllllllllllll15HIP_vector_typeIjLj3EES9_S9_S9_S9_,comdat
	.globl	_ZL10k_set_rowsIflfEvPKT_PKT0_PT1_llllllllllllll15HIP_vector_typeIjLj3EES9_S9_S9_S9_ ; -- Begin function _ZL10k_set_rowsIflfEvPKT_PKT0_PT1_llllllllllllll15HIP_vector_typeIjLj3EES9_S9_S9_S9_
	.p2align	8
	.type	_ZL10k_set_rowsIflfEvPKT_PKT0_PT1_llllllllllllll15HIP_vector_typeIjLj3EES9_S9_S9_S9_,@function
_ZL10k_set_rowsIflfEvPKT_PKT0_PT1_llllllllllllll15HIP_vector_typeIjLj3EES9_S9_S9_S9_: ; @_ZL10k_set_rowsIflfEvPKT_PKT0_PT1_llllllllllllll15HIP_vector_typeIjLj3EES9_S9_S9_S9_
; %bb.0:
	s_load_dword s3, s[0:1], 0xd4
	s_load_dwordx8 s[16:23], s[0:1], 0x0
	v_mov_b32_e32 v1, 0
	v_mov_b32_e32 v2, s2
	s_waitcnt lgkmcnt(0)
	s_and_b32 s3, s3, 0xffff
	v_mad_u64_u32 v[2:3], s[2:3], s3, v2, v[0:1]
	v_cmp_gt_i64_e32 vcc, s[22:23], v[2:3]
	s_and_saveexec_b64 s[2:3], vcc
	s_cbranch_execz .LBB0_2
; %bb.1:
	v_mov_b32_e32 v4, s16
	v_mov_b32_e32 v5, s17
	;; [unrolled: 1-line block ×4, first 2 shown]
	s_load_dwordx8 s[24:31], s[0:1], 0x88
	s_load_dwordx16 s[4:19], s[0:1], 0x40
	s_load_dword s22, s[0:1], 0xc0
	s_load_dwordx2 s[2:3], s[0:1], 0xb8
	s_load_dwordx4 s[36:39], s[0:1], 0xa8
	s_waitcnt lgkmcnt(0)
	v_mul_hi_u32 v0, v2, s24
	v_add_u32_e32 v0, v0, v2
	v_lshrrev_b32_e32 v3, s25, v0
	v_mul_lo_u32 v0, v3, s26
	v_sub_u32_e32 v0, v2, v0
	v_mul_hi_u32 v2, v3, s27
	v_add_u32_e32 v2, v3, v2
	v_lshrrev_b32_e32 v2, s28, v2
	v_mul_lo_u32 v8, v2, s29
	v_sub_u32_e32 v10, v3, v8
	;; [unrolled: 5-line block ×5, first 2 shown]
	v_mad_u64_u32 v[2:3], s[2:3], s10, v10, 0
	v_mov_b32_e32 v8, v3
	v_mad_u64_u32 v[8:9], s[2:3], s11, v10, v[8:9]
	v_mov_b32_e32 v3, v8
	v_lshl_add_u64 v[2:3], v[2:3], 3, v[6:7]
	v_mad_u64_u32 v[6:7], s[2:3], s12, v14, 0
	v_mov_b32_e32 v8, v7
	v_mad_u64_u32 v[8:9], s[2:3], s13, v14, v[8:9]
	v_mov_b32_e32 v7, v8
	v_lshl_add_u64 v[2:3], v[6:7], 3, v[2:3]
	;; [unrolled: 5-line block ×4, first 2 shown]
	v_mad_u64_u32 v[6:7], s[2:3], s6, v13, 0
	v_mov_b32_e32 v8, v7
	v_mad_u64_u32 v[8:9], s[2:3], s7, v13, v[8:9]
	v_mov_b32_e32 v7, v8
	global_load_dwordx2 v[2:3], v[2:3], off
	v_lshl_add_u64 v[4:5], v[6:7], 2, v[4:5]
	v_mad_u64_u32 v[6:7], s[2:3], s8, v12, 0
	v_mov_b32_e32 v8, v7
	v_mad_u64_u32 v[8:9], s[2:3], s9, v12, v[8:9]
	v_mov_b32_e32 v7, v8
	v_lshl_add_u64 v[4:5], v[6:7], 2, v[4:5]
	v_lshlrev_b64 v[0:1], 2, v[0:1]
	v_lshl_add_u64 v[4:5], v[4:5], 0, v[0:1]
	global_load_dword v14, v[4:5], off
	s_load_dwordx2 s[0:1], s[0:1], 0x80
	v_mad_u64_u32 v[10:11], s[2:3], s18, v13, 0
	v_mov_b32_e32 v4, s20
	v_mov_b32_e32 v5, s21
	s_waitcnt lgkmcnt(0)
	v_mad_u64_u32 v[6:7], s[2:3], s0, v12, 0
	v_mov_b32_e32 v8, v7
	v_mad_u64_u32 v[8:9], s[0:1], s1, v12, v[8:9]
	v_mov_b32_e32 v12, v11
	;; [unrolled: 2-line block ×3, first 2 shown]
	s_waitcnt vmcnt(1)
	v_mul_lo_u32 v7, v3, s16
	v_mul_lo_u32 v9, v2, s17
	v_mad_u64_u32 v[2:3], s[0:1], v2, s16, 0
	v_add3_u32 v3, v3, v9, v7
	v_lshl_add_u64 v[2:3], v[2:3], 2, v[4:5]
	v_lshl_add_u64 v[2:3], v[10:11], 2, v[2:3]
	v_mov_b32_e32 v7, v8
	v_lshl_add_u64 v[2:3], v[6:7], 2, v[2:3]
	v_lshl_add_u64 v[0:1], v[2:3], 0, v[0:1]
	s_waitcnt vmcnt(0)
	global_store_dword v[0:1], v14, off
.LBB0_2:
	s_endpgm
	.section	.rodata,"a",@progbits
	.p2align	6, 0x0
	.amdhsa_kernel _ZL10k_set_rowsIflfEvPKT_PKT0_PT1_llllllllllllll15HIP_vector_typeIjLj3EES9_S9_S9_S9_
		.amdhsa_group_segment_fixed_size 0
		.amdhsa_private_segment_fixed_size 0
		.amdhsa_kernarg_size 456
		.amdhsa_user_sgpr_count 2
		.amdhsa_user_sgpr_dispatch_ptr 0
		.amdhsa_user_sgpr_queue_ptr 0
		.amdhsa_user_sgpr_kernarg_segment_ptr 1
		.amdhsa_user_sgpr_dispatch_id 0
		.amdhsa_user_sgpr_kernarg_preload_length 0
		.amdhsa_user_sgpr_kernarg_preload_offset 0
		.amdhsa_user_sgpr_private_segment_size 0
		.amdhsa_uses_dynamic_stack 0
		.amdhsa_enable_private_segment 0
		.amdhsa_system_sgpr_workgroup_id_x 1
		.amdhsa_system_sgpr_workgroup_id_y 0
		.amdhsa_system_sgpr_workgroup_id_z 0
		.amdhsa_system_sgpr_workgroup_info 0
		.amdhsa_system_vgpr_workitem_id 0
		.amdhsa_next_free_vgpr 15
		.amdhsa_next_free_sgpr 40
		.amdhsa_accum_offset 16
		.amdhsa_reserve_vcc 1
		.amdhsa_float_round_mode_32 0
		.amdhsa_float_round_mode_16_64 0
		.amdhsa_float_denorm_mode_32 3
		.amdhsa_float_denorm_mode_16_64 3
		.amdhsa_dx10_clamp 1
		.amdhsa_ieee_mode 1
		.amdhsa_fp16_overflow 0
		.amdhsa_tg_split 0
		.amdhsa_exception_fp_ieee_invalid_op 0
		.amdhsa_exception_fp_denorm_src 0
		.amdhsa_exception_fp_ieee_div_zero 0
		.amdhsa_exception_fp_ieee_overflow 0
		.amdhsa_exception_fp_ieee_underflow 0
		.amdhsa_exception_fp_ieee_inexact 0
		.amdhsa_exception_int_div_zero 0
	.end_amdhsa_kernel
	.section	.text._ZL10k_set_rowsIflfEvPKT_PKT0_PT1_llllllllllllll15HIP_vector_typeIjLj3EES9_S9_S9_S9_,"axG",@progbits,_ZL10k_set_rowsIflfEvPKT_PKT0_PT1_llllllllllllll15HIP_vector_typeIjLj3EES9_S9_S9_S9_,comdat
.Lfunc_end0:
	.size	_ZL10k_set_rowsIflfEvPKT_PKT0_PT1_llllllllllllll15HIP_vector_typeIjLj3EES9_S9_S9_S9_, .Lfunc_end0-_ZL10k_set_rowsIflfEvPKT_PKT0_PT1_llllllllllllll15HIP_vector_typeIjLj3EES9_S9_S9_S9_
                                        ; -- End function
	.set _ZL10k_set_rowsIflfEvPKT_PKT0_PT1_llllllllllllll15HIP_vector_typeIjLj3EES9_S9_S9_S9_.num_vgpr, 15
	.set _ZL10k_set_rowsIflfEvPKT_PKT0_PT1_llllllllllllll15HIP_vector_typeIjLj3EES9_S9_S9_S9_.num_agpr, 0
	.set _ZL10k_set_rowsIflfEvPKT_PKT0_PT1_llllllllllllll15HIP_vector_typeIjLj3EES9_S9_S9_S9_.numbered_sgpr, 40
	.set _ZL10k_set_rowsIflfEvPKT_PKT0_PT1_llllllllllllll15HIP_vector_typeIjLj3EES9_S9_S9_S9_.num_named_barrier, 0
	.set _ZL10k_set_rowsIflfEvPKT_PKT0_PT1_llllllllllllll15HIP_vector_typeIjLj3EES9_S9_S9_S9_.private_seg_size, 0
	.set _ZL10k_set_rowsIflfEvPKT_PKT0_PT1_llllllllllllll15HIP_vector_typeIjLj3EES9_S9_S9_S9_.uses_vcc, 1
	.set _ZL10k_set_rowsIflfEvPKT_PKT0_PT1_llllllllllllll15HIP_vector_typeIjLj3EES9_S9_S9_S9_.uses_flat_scratch, 0
	.set _ZL10k_set_rowsIflfEvPKT_PKT0_PT1_llllllllllllll15HIP_vector_typeIjLj3EES9_S9_S9_S9_.has_dyn_sized_stack, 0
	.set _ZL10k_set_rowsIflfEvPKT_PKT0_PT1_llllllllllllll15HIP_vector_typeIjLj3EES9_S9_S9_S9_.has_recursion, 0
	.set _ZL10k_set_rowsIflfEvPKT_PKT0_PT1_llllllllllllll15HIP_vector_typeIjLj3EES9_S9_S9_S9_.has_indirect_call, 0
	.section	.AMDGPU.csdata,"",@progbits
; Kernel info:
; codeLenInByte = 632
; TotalNumSgprs: 46
; NumVgprs: 15
; NumAgprs: 0
; TotalNumVgprs: 15
; ScratchSize: 0
; MemoryBound: 0
; FloatMode: 240
; IeeeMode: 1
; LDSByteSize: 0 bytes/workgroup (compile time only)
; SGPRBlocks: 5
; VGPRBlocks: 1
; NumSGPRsForWavesPerEU: 46
; NumVGPRsForWavesPerEU: 15
; AccumOffset: 16
; Occupancy: 8
; WaveLimiterHint : 1
; COMPUTE_PGM_RSRC2:SCRATCH_EN: 0
; COMPUTE_PGM_RSRC2:USER_SGPR: 2
; COMPUTE_PGM_RSRC2:TRAP_HANDLER: 0
; COMPUTE_PGM_RSRC2:TGID_X_EN: 1
; COMPUTE_PGM_RSRC2:TGID_Y_EN: 0
; COMPUTE_PGM_RSRC2:TGID_Z_EN: 0
; COMPUTE_PGM_RSRC2:TIDIG_COMP_CNT: 0
; COMPUTE_PGM_RSRC3_GFX90A:ACCUM_OFFSET: 3
; COMPUTE_PGM_RSRC3_GFX90A:TG_SPLIT: 0
	.section	.text._ZL10k_set_rowsIfl6__halfEvPKT_PKT0_PT1_llllllllllllll15HIP_vector_typeIjLj3EESA_SA_SA_SA_,"axG",@progbits,_ZL10k_set_rowsIfl6__halfEvPKT_PKT0_PT1_llllllllllllll15HIP_vector_typeIjLj3EESA_SA_SA_SA_,comdat
	.globl	_ZL10k_set_rowsIfl6__halfEvPKT_PKT0_PT1_llllllllllllll15HIP_vector_typeIjLj3EESA_SA_SA_SA_ ; -- Begin function _ZL10k_set_rowsIfl6__halfEvPKT_PKT0_PT1_llllllllllllll15HIP_vector_typeIjLj3EESA_SA_SA_SA_
	.p2align	8
	.type	_ZL10k_set_rowsIfl6__halfEvPKT_PKT0_PT1_llllllllllllll15HIP_vector_typeIjLj3EESA_SA_SA_SA_,@function
_ZL10k_set_rowsIfl6__halfEvPKT_PKT0_PT1_llllllllllllll15HIP_vector_typeIjLj3EESA_SA_SA_SA_: ; @_ZL10k_set_rowsIfl6__halfEvPKT_PKT0_PT1_llllllllllllll15HIP_vector_typeIjLj3EESA_SA_SA_SA_
; %bb.0:
	s_load_dword s3, s[0:1], 0xd4
	s_load_dwordx8 s[16:23], s[0:1], 0x0
	v_mov_b32_e32 v1, 0
	v_mov_b32_e32 v2, s2
	s_waitcnt lgkmcnt(0)
	s_and_b32 s3, s3, 0xffff
	v_mad_u64_u32 v[2:3], s[2:3], s3, v2, v[0:1]
	v_cmp_gt_i64_e32 vcc, s[22:23], v[2:3]
	s_and_saveexec_b64 s[2:3], vcc
	s_cbranch_execz .LBB1_2
; %bb.1:
	v_mov_b32_e32 v4, s16
	v_mov_b32_e32 v5, s17
	;; [unrolled: 1-line block ×4, first 2 shown]
	s_load_dwordx8 s[24:31], s[0:1], 0x88
	s_load_dwordx16 s[4:19], s[0:1], 0x40
	s_load_dword s22, s[0:1], 0xc0
	s_load_dwordx2 s[2:3], s[0:1], 0xb8
	s_load_dwordx4 s[36:39], s[0:1], 0xa8
	s_waitcnt lgkmcnt(0)
	v_mul_hi_u32 v0, v2, s24
	v_add_u32_e32 v0, v0, v2
	v_lshrrev_b32_e32 v3, s25, v0
	v_mul_lo_u32 v0, v3, s26
	v_sub_u32_e32 v0, v2, v0
	v_mul_hi_u32 v2, v3, s27
	v_add_u32_e32 v2, v3, v2
	v_lshrrev_b32_e32 v2, s28, v2
	v_mul_lo_u32 v8, v2, s29
	v_sub_u32_e32 v10, v3, v8
	;; [unrolled: 5-line block ×5, first 2 shown]
	v_mad_u64_u32 v[2:3], s[2:3], s10, v10, 0
	v_mov_b32_e32 v8, v3
	v_mad_u64_u32 v[8:9], s[2:3], s11, v10, v[8:9]
	v_mov_b32_e32 v3, v8
	v_lshl_add_u64 v[2:3], v[2:3], 3, v[6:7]
	v_mad_u64_u32 v[6:7], s[2:3], s12, v14, 0
	v_mov_b32_e32 v8, v7
	v_mad_u64_u32 v[8:9], s[2:3], s13, v14, v[8:9]
	v_mov_b32_e32 v7, v8
	v_lshl_add_u64 v[2:3], v[6:7], 3, v[2:3]
	;; [unrolled: 5-line block ×6, first 2 shown]
	v_lshl_add_u64 v[4:5], v[0:1], 2, v[4:5]
	global_load_dword v14, v[4:5], off
	global_load_dwordx2 v[6:7], v[2:3], off
	s_load_dwordx2 s[0:1], s[0:1], 0x80
	v_mad_u64_u32 v[10:11], s[2:3], s18, v13, 0
	v_mov_b32_e32 v2, s20
	v_mov_b32_e32 v3, s21
	s_waitcnt lgkmcnt(0)
	v_mad_u64_u32 v[4:5], s[2:3], s0, v12, 0
	v_mov_b32_e32 v8, v5
	v_mad_u64_u32 v[8:9], s[0:1], s1, v12, v[8:9]
	v_mov_b32_e32 v12, v11
	v_mad_u64_u32 v[12:13], s[0:1], s19, v13, v[12:13]
	v_mov_b32_e32 v11, v12
	s_waitcnt vmcnt(1)
	v_cvt_f16_f32_e32 v9, v14
	s_waitcnt vmcnt(0)
	v_mul_lo_u32 v5, v7, s16
	v_mul_lo_u32 v12, v6, s17
	v_mad_u64_u32 v[6:7], s[0:1], v6, s16, 0
	v_add3_u32 v7, v7, v12, v5
	v_lshl_add_u64 v[2:3], v[6:7], 1, v[2:3]
	v_lshl_add_u64 v[2:3], v[10:11], 1, v[2:3]
	v_mov_b32_e32 v5, v8
	v_lshl_add_u64 v[2:3], v[4:5], 1, v[2:3]
	v_lshl_add_u64 v[0:1], v[0:1], 1, v[2:3]
	global_store_short v[0:1], v9, off
.LBB1_2:
	s_endpgm
	.section	.rodata,"a",@progbits
	.p2align	6, 0x0
	.amdhsa_kernel _ZL10k_set_rowsIfl6__halfEvPKT_PKT0_PT1_llllllllllllll15HIP_vector_typeIjLj3EESA_SA_SA_SA_
		.amdhsa_group_segment_fixed_size 0
		.amdhsa_private_segment_fixed_size 0
		.amdhsa_kernarg_size 456
		.amdhsa_user_sgpr_count 2
		.amdhsa_user_sgpr_dispatch_ptr 0
		.amdhsa_user_sgpr_queue_ptr 0
		.amdhsa_user_sgpr_kernarg_segment_ptr 1
		.amdhsa_user_sgpr_dispatch_id 0
		.amdhsa_user_sgpr_kernarg_preload_length 0
		.amdhsa_user_sgpr_kernarg_preload_offset 0
		.amdhsa_user_sgpr_private_segment_size 0
		.amdhsa_uses_dynamic_stack 0
		.amdhsa_enable_private_segment 0
		.amdhsa_system_sgpr_workgroup_id_x 1
		.amdhsa_system_sgpr_workgroup_id_y 0
		.amdhsa_system_sgpr_workgroup_id_z 0
		.amdhsa_system_sgpr_workgroup_info 0
		.amdhsa_system_vgpr_workitem_id 0
		.amdhsa_next_free_vgpr 15
		.amdhsa_next_free_sgpr 40
		.amdhsa_accum_offset 16
		.amdhsa_reserve_vcc 1
		.amdhsa_float_round_mode_32 0
		.amdhsa_float_round_mode_16_64 0
		.amdhsa_float_denorm_mode_32 3
		.amdhsa_float_denorm_mode_16_64 3
		.amdhsa_dx10_clamp 1
		.amdhsa_ieee_mode 1
		.amdhsa_fp16_overflow 0
		.amdhsa_tg_split 0
		.amdhsa_exception_fp_ieee_invalid_op 0
		.amdhsa_exception_fp_denorm_src 0
		.amdhsa_exception_fp_ieee_div_zero 0
		.amdhsa_exception_fp_ieee_overflow 0
		.amdhsa_exception_fp_ieee_underflow 0
		.amdhsa_exception_fp_ieee_inexact 0
		.amdhsa_exception_int_div_zero 0
	.end_amdhsa_kernel
	.section	.text._ZL10k_set_rowsIfl6__halfEvPKT_PKT0_PT1_llllllllllllll15HIP_vector_typeIjLj3EESA_SA_SA_SA_,"axG",@progbits,_ZL10k_set_rowsIfl6__halfEvPKT_PKT0_PT1_llllllllllllll15HIP_vector_typeIjLj3EESA_SA_SA_SA_,comdat
.Lfunc_end1:
	.size	_ZL10k_set_rowsIfl6__halfEvPKT_PKT0_PT1_llllllllllllll15HIP_vector_typeIjLj3EESA_SA_SA_SA_, .Lfunc_end1-_ZL10k_set_rowsIfl6__halfEvPKT_PKT0_PT1_llllllllllllll15HIP_vector_typeIjLj3EESA_SA_SA_SA_
                                        ; -- End function
	.set _ZL10k_set_rowsIfl6__halfEvPKT_PKT0_PT1_llllllllllllll15HIP_vector_typeIjLj3EESA_SA_SA_SA_.num_vgpr, 15
	.set _ZL10k_set_rowsIfl6__halfEvPKT_PKT0_PT1_llllllllllllll15HIP_vector_typeIjLj3EESA_SA_SA_SA_.num_agpr, 0
	.set _ZL10k_set_rowsIfl6__halfEvPKT_PKT0_PT1_llllllllllllll15HIP_vector_typeIjLj3EESA_SA_SA_SA_.numbered_sgpr, 40
	.set _ZL10k_set_rowsIfl6__halfEvPKT_PKT0_PT1_llllllllllllll15HIP_vector_typeIjLj3EESA_SA_SA_SA_.num_named_barrier, 0
	.set _ZL10k_set_rowsIfl6__halfEvPKT_PKT0_PT1_llllllllllllll15HIP_vector_typeIjLj3EESA_SA_SA_SA_.private_seg_size, 0
	.set _ZL10k_set_rowsIfl6__halfEvPKT_PKT0_PT1_llllllllllllll15HIP_vector_typeIjLj3EESA_SA_SA_SA_.uses_vcc, 1
	.set _ZL10k_set_rowsIfl6__halfEvPKT_PKT0_PT1_llllllllllllll15HIP_vector_typeIjLj3EESA_SA_SA_SA_.uses_flat_scratch, 0
	.set _ZL10k_set_rowsIfl6__halfEvPKT_PKT0_PT1_llllllllllllll15HIP_vector_typeIjLj3EESA_SA_SA_SA_.has_dyn_sized_stack, 0
	.set _ZL10k_set_rowsIfl6__halfEvPKT_PKT0_PT1_llllllllllllll15HIP_vector_typeIjLj3EESA_SA_SA_SA_.has_recursion, 0
	.set _ZL10k_set_rowsIfl6__halfEvPKT_PKT0_PT1_llllllllllllll15HIP_vector_typeIjLj3EESA_SA_SA_SA_.has_indirect_call, 0
	.section	.AMDGPU.csdata,"",@progbits
; Kernel info:
; codeLenInByte = 628
; TotalNumSgprs: 46
; NumVgprs: 15
; NumAgprs: 0
; TotalNumVgprs: 15
; ScratchSize: 0
; MemoryBound: 0
; FloatMode: 240
; IeeeMode: 1
; LDSByteSize: 0 bytes/workgroup (compile time only)
; SGPRBlocks: 5
; VGPRBlocks: 1
; NumSGPRsForWavesPerEU: 46
; NumVGPRsForWavesPerEU: 15
; AccumOffset: 16
; Occupancy: 8
; WaveLimiterHint : 1
; COMPUTE_PGM_RSRC2:SCRATCH_EN: 0
; COMPUTE_PGM_RSRC2:USER_SGPR: 2
; COMPUTE_PGM_RSRC2:TRAP_HANDLER: 0
; COMPUTE_PGM_RSRC2:TGID_X_EN: 1
; COMPUTE_PGM_RSRC2:TGID_Y_EN: 0
; COMPUTE_PGM_RSRC2:TGID_Z_EN: 0
; COMPUTE_PGM_RSRC2:TIDIG_COMP_CNT: 0
; COMPUTE_PGM_RSRC3_GFX90A:ACCUM_OFFSET: 3
; COMPUTE_PGM_RSRC3_GFX90A:TG_SPLIT: 0
	.section	.text._ZL10k_set_rowsIfl14__hip_bfloat16EvPKT_PKT0_PT1_llllllllllllll15HIP_vector_typeIjLj3EESA_SA_SA_SA_,"axG",@progbits,_ZL10k_set_rowsIfl14__hip_bfloat16EvPKT_PKT0_PT1_llllllllllllll15HIP_vector_typeIjLj3EESA_SA_SA_SA_,comdat
	.globl	_ZL10k_set_rowsIfl14__hip_bfloat16EvPKT_PKT0_PT1_llllllllllllll15HIP_vector_typeIjLj3EESA_SA_SA_SA_ ; -- Begin function _ZL10k_set_rowsIfl14__hip_bfloat16EvPKT_PKT0_PT1_llllllllllllll15HIP_vector_typeIjLj3EESA_SA_SA_SA_
	.p2align	8
	.type	_ZL10k_set_rowsIfl14__hip_bfloat16EvPKT_PKT0_PT1_llllllllllllll15HIP_vector_typeIjLj3EESA_SA_SA_SA_,@function
_ZL10k_set_rowsIfl14__hip_bfloat16EvPKT_PKT0_PT1_llllllllllllll15HIP_vector_typeIjLj3EESA_SA_SA_SA_: ; @_ZL10k_set_rowsIfl14__hip_bfloat16EvPKT_PKT0_PT1_llllllllllllll15HIP_vector_typeIjLj3EESA_SA_SA_SA_
; %bb.0:
	s_load_dword s3, s[0:1], 0xd4
	s_load_dwordx8 s[16:23], s[0:1], 0x0
	v_mov_b32_e32 v1, 0
	v_mov_b32_e32 v2, s2
	s_waitcnt lgkmcnt(0)
	s_and_b32 s3, s3, 0xffff
	v_mad_u64_u32 v[2:3], s[2:3], s3, v2, v[0:1]
	v_cmp_gt_i64_e32 vcc, s[22:23], v[2:3]
	s_and_saveexec_b64 s[2:3], vcc
	s_cbranch_execz .LBB2_2
; %bb.1:
	v_mov_b32_e32 v4, s16
	v_mov_b32_e32 v5, s17
	;; [unrolled: 1-line block ×4, first 2 shown]
	s_load_dwordx8 s[24:31], s[0:1], 0x88
	s_load_dwordx16 s[4:19], s[0:1], 0x40
	s_load_dword s22, s[0:1], 0xc0
	s_load_dwordx2 s[2:3], s[0:1], 0xb8
	s_load_dwordx4 s[36:39], s[0:1], 0xa8
	s_waitcnt lgkmcnt(0)
	v_mul_hi_u32 v0, v2, s24
	v_add_u32_e32 v0, v0, v2
	v_lshrrev_b32_e32 v3, s25, v0
	v_mul_lo_u32 v0, v3, s26
	v_sub_u32_e32 v0, v2, v0
	v_mul_hi_u32 v2, v3, s27
	v_add_u32_e32 v2, v3, v2
	v_lshrrev_b32_e32 v2, s28, v2
	v_mul_lo_u32 v8, v2, s29
	v_sub_u32_e32 v10, v3, v8
	;; [unrolled: 5-line block ×5, first 2 shown]
	v_mad_u64_u32 v[2:3], s[2:3], s10, v10, 0
	v_mov_b32_e32 v8, v3
	v_mad_u64_u32 v[8:9], s[2:3], s11, v10, v[8:9]
	v_mov_b32_e32 v3, v8
	v_lshl_add_u64 v[2:3], v[2:3], 3, v[6:7]
	v_mad_u64_u32 v[6:7], s[2:3], s12, v14, 0
	v_mov_b32_e32 v8, v7
	v_mad_u64_u32 v[8:9], s[2:3], s13, v14, v[8:9]
	v_mov_b32_e32 v7, v8
	v_lshl_add_u64 v[2:3], v[6:7], 3, v[2:3]
	;; [unrolled: 5-line block ×5, first 2 shown]
	v_mad_u64_u32 v[6:7], s[2:3], s8, v12, 0
	global_load_dwordx2 v[2:3], v[2:3], off
	v_mov_b32_e32 v8, v7
	v_mad_u64_u32 v[8:9], s[2:3], s9, v12, v[8:9]
	v_mov_b32_e32 v7, v8
	v_lshl_add_u64 v[4:5], v[6:7], 2, v[4:5]
	v_lshl_add_u64 v[4:5], v[0:1], 2, v[4:5]
	global_load_dword v14, v[4:5], off
	s_load_dwordx2 s[0:1], s[0:1], 0x80
	v_mad_u64_u32 v[10:11], s[2:3], s18, v13, 0
	v_mov_b32_e32 v4, s20
	v_mov_b32_e32 v5, s21
	s_waitcnt lgkmcnt(0)
	v_mad_u64_u32 v[6:7], s[2:3], s0, v12, 0
	v_mov_b32_e32 v8, v7
	v_mad_u64_u32 v[8:9], s[0:1], s1, v12, v[8:9]
	v_mov_b32_e32 v12, v11
	v_mov_b32_e32 v7, v8
	v_mad_u64_u32 v[8:9], s[0:1], s19, v13, v[12:13]
	v_mov_b32_e32 v11, v8
	s_waitcnt vmcnt(1)
	v_mul_lo_u32 v8, v3, s16
	v_mul_lo_u32 v9, v2, s17
	v_mad_u64_u32 v[2:3], s[0:1], v2, s16, 0
	v_add3_u32 v3, v3, v9, v8
	v_lshl_add_u64 v[2:3], v[2:3], 1, v[4:5]
	v_lshl_add_u64 v[2:3], v[10:11], 1, v[2:3]
	;; [unrolled: 1-line block ×3, first 2 shown]
	s_waitcnt vmcnt(0)
	v_cvt_pk_bf16_f32 v4, v14, s0
	v_lshl_add_u64 v[0:1], v[0:1], 1, v[2:3]
	global_store_short v[0:1], v4, off
.LBB2_2:
	s_endpgm
	.section	.rodata,"a",@progbits
	.p2align	6, 0x0
	.amdhsa_kernel _ZL10k_set_rowsIfl14__hip_bfloat16EvPKT_PKT0_PT1_llllllllllllll15HIP_vector_typeIjLj3EESA_SA_SA_SA_
		.amdhsa_group_segment_fixed_size 0
		.amdhsa_private_segment_fixed_size 0
		.amdhsa_kernarg_size 456
		.amdhsa_user_sgpr_count 2
		.amdhsa_user_sgpr_dispatch_ptr 0
		.amdhsa_user_sgpr_queue_ptr 0
		.amdhsa_user_sgpr_kernarg_segment_ptr 1
		.amdhsa_user_sgpr_dispatch_id 0
		.amdhsa_user_sgpr_kernarg_preload_length 0
		.amdhsa_user_sgpr_kernarg_preload_offset 0
		.amdhsa_user_sgpr_private_segment_size 0
		.amdhsa_uses_dynamic_stack 0
		.amdhsa_enable_private_segment 0
		.amdhsa_system_sgpr_workgroup_id_x 1
		.amdhsa_system_sgpr_workgroup_id_y 0
		.amdhsa_system_sgpr_workgroup_id_z 0
		.amdhsa_system_sgpr_workgroup_info 0
		.amdhsa_system_vgpr_workitem_id 0
		.amdhsa_next_free_vgpr 15
		.amdhsa_next_free_sgpr 40
		.amdhsa_accum_offset 16
		.amdhsa_reserve_vcc 1
		.amdhsa_float_round_mode_32 0
		.amdhsa_float_round_mode_16_64 0
		.amdhsa_float_denorm_mode_32 3
		.amdhsa_float_denorm_mode_16_64 3
		.amdhsa_dx10_clamp 1
		.amdhsa_ieee_mode 1
		.amdhsa_fp16_overflow 0
		.amdhsa_tg_split 0
		.amdhsa_exception_fp_ieee_invalid_op 0
		.amdhsa_exception_fp_denorm_src 0
		.amdhsa_exception_fp_ieee_div_zero 0
		.amdhsa_exception_fp_ieee_overflow 0
		.amdhsa_exception_fp_ieee_underflow 0
		.amdhsa_exception_fp_ieee_inexact 0
		.amdhsa_exception_int_div_zero 0
	.end_amdhsa_kernel
	.section	.text._ZL10k_set_rowsIfl14__hip_bfloat16EvPKT_PKT0_PT1_llllllllllllll15HIP_vector_typeIjLj3EESA_SA_SA_SA_,"axG",@progbits,_ZL10k_set_rowsIfl14__hip_bfloat16EvPKT_PKT0_PT1_llllllllllllll15HIP_vector_typeIjLj3EESA_SA_SA_SA_,comdat
.Lfunc_end2:
	.size	_ZL10k_set_rowsIfl14__hip_bfloat16EvPKT_PKT0_PT1_llllllllllllll15HIP_vector_typeIjLj3EESA_SA_SA_SA_, .Lfunc_end2-_ZL10k_set_rowsIfl14__hip_bfloat16EvPKT_PKT0_PT1_llllllllllllll15HIP_vector_typeIjLj3EESA_SA_SA_SA_
                                        ; -- End function
	.set _ZL10k_set_rowsIfl14__hip_bfloat16EvPKT_PKT0_PT1_llllllllllllll15HIP_vector_typeIjLj3EESA_SA_SA_SA_.num_vgpr, 15
	.set _ZL10k_set_rowsIfl14__hip_bfloat16EvPKT_PKT0_PT1_llllllllllllll15HIP_vector_typeIjLj3EESA_SA_SA_SA_.num_agpr, 0
	.set _ZL10k_set_rowsIfl14__hip_bfloat16EvPKT_PKT0_PT1_llllllllllllll15HIP_vector_typeIjLj3EESA_SA_SA_SA_.numbered_sgpr, 40
	.set _ZL10k_set_rowsIfl14__hip_bfloat16EvPKT_PKT0_PT1_llllllllllllll15HIP_vector_typeIjLj3EESA_SA_SA_SA_.num_named_barrier, 0
	.set _ZL10k_set_rowsIfl14__hip_bfloat16EvPKT_PKT0_PT1_llllllllllllll15HIP_vector_typeIjLj3EESA_SA_SA_SA_.private_seg_size, 0
	.set _ZL10k_set_rowsIfl14__hip_bfloat16EvPKT_PKT0_PT1_llllllllllllll15HIP_vector_typeIjLj3EESA_SA_SA_SA_.uses_vcc, 1
	.set _ZL10k_set_rowsIfl14__hip_bfloat16EvPKT_PKT0_PT1_llllllllllllll15HIP_vector_typeIjLj3EESA_SA_SA_SA_.uses_flat_scratch, 0
	.set _ZL10k_set_rowsIfl14__hip_bfloat16EvPKT_PKT0_PT1_llllllllllllll15HIP_vector_typeIjLj3EESA_SA_SA_SA_.has_dyn_sized_stack, 0
	.set _ZL10k_set_rowsIfl14__hip_bfloat16EvPKT_PKT0_PT1_llllllllllllll15HIP_vector_typeIjLj3EESA_SA_SA_SA_.has_recursion, 0
	.set _ZL10k_set_rowsIfl14__hip_bfloat16EvPKT_PKT0_PT1_llllllllllllll15HIP_vector_typeIjLj3EESA_SA_SA_SA_.has_indirect_call, 0
	.section	.AMDGPU.csdata,"",@progbits
; Kernel info:
; codeLenInByte = 632
; TotalNumSgprs: 46
; NumVgprs: 15
; NumAgprs: 0
; TotalNumVgprs: 15
; ScratchSize: 0
; MemoryBound: 0
; FloatMode: 240
; IeeeMode: 1
; LDSByteSize: 0 bytes/workgroup (compile time only)
; SGPRBlocks: 5
; VGPRBlocks: 1
; NumSGPRsForWavesPerEU: 46
; NumVGPRsForWavesPerEU: 15
; AccumOffset: 16
; Occupancy: 8
; WaveLimiterHint : 1
; COMPUTE_PGM_RSRC2:SCRATCH_EN: 0
; COMPUTE_PGM_RSRC2:USER_SGPR: 2
; COMPUTE_PGM_RSRC2:TRAP_HANDLER: 0
; COMPUTE_PGM_RSRC2:TGID_X_EN: 1
; COMPUTE_PGM_RSRC2:TGID_Y_EN: 0
; COMPUTE_PGM_RSRC2:TGID_Z_EN: 0
; COMPUTE_PGM_RSRC2:TIDIG_COMP_CNT: 0
; COMPUTE_PGM_RSRC3_GFX90A:ACCUM_OFFSET: 3
; COMPUTE_PGM_RSRC3_GFX90A:TG_SPLIT: 0
	.section	.text._ZL16k_set_rows_quantIl10block_q4_0Li32ETnPFvPKfPT0_EXadL_ZL23quantize_f32_q4_0_blockS2_PS0_EEEvS2_PKT_S4_llllllllllllll15HIP_vector_typeIjLj3EESC_SC_SC_SC_,"axG",@progbits,_ZL16k_set_rows_quantIl10block_q4_0Li32ETnPFvPKfPT0_EXadL_ZL23quantize_f32_q4_0_blockS2_PS0_EEEvS2_PKT_S4_llllllllllllll15HIP_vector_typeIjLj3EESC_SC_SC_SC_,comdat
	.globl	_ZL16k_set_rows_quantIl10block_q4_0Li32ETnPFvPKfPT0_EXadL_ZL23quantize_f32_q4_0_blockS2_PS0_EEEvS2_PKT_S4_llllllllllllll15HIP_vector_typeIjLj3EESC_SC_SC_SC_ ; -- Begin function _ZL16k_set_rows_quantIl10block_q4_0Li32ETnPFvPKfPT0_EXadL_ZL23quantize_f32_q4_0_blockS2_PS0_EEEvS2_PKT_S4_llllllllllllll15HIP_vector_typeIjLj3EESC_SC_SC_SC_
	.p2align	8
	.type	_ZL16k_set_rows_quantIl10block_q4_0Li32ETnPFvPKfPT0_EXadL_ZL23quantize_f32_q4_0_blockS2_PS0_EEEvS2_PKT_S4_llllllllllllll15HIP_vector_typeIjLj3EESC_SC_SC_SC_,@function
_ZL16k_set_rows_quantIl10block_q4_0Li32ETnPFvPKfPT0_EXadL_ZL23quantize_f32_q4_0_blockS2_PS0_EEEvS2_PKT_S4_llllllllllllll15HIP_vector_typeIjLj3EESC_SC_SC_SC_: ; @_ZL16k_set_rows_quantIl10block_q4_0Li32ETnPFvPKfPT0_EXadL_ZL23quantize_f32_q4_0_blockS2_PS0_EEEvS2_PKT_S4_llllllllllllll15HIP_vector_typeIjLj3EESC_SC_SC_SC_
; %bb.0:
	s_load_dword s3, s[0:1], 0xd4
	s_load_dwordx2 s[4:5], s[0:1], 0x18
	v_mov_b32_e32 v1, 0
	v_mov_b32_e32 v2, s2
	s_waitcnt lgkmcnt(0)
	s_and_b32 s3, s3, 0xffff
	v_mad_u64_u32 v[2:3], s[2:3], s3, v2, v[0:1]
	v_cmp_gt_i64_e32 vcc, s[4:5], v[2:3]
	s_and_saveexec_b64 s[2:3], vcc
	s_cbranch_execz .LBB3_2
; %bb.1:
	s_load_dwordx4 s[28:31], s[0:1], 0x0
	s_load_dwordx2 s[2:3], s[0:1], 0x10
	s_load_dwordx16 s[4:19], s[0:1], 0x40
	s_load_dwordx8 s[20:27], s[0:1], 0x88
	s_load_dword s33, s[0:1], 0xc0
	s_load_dwordx2 s[34:35], s[0:1], 0xb8
	s_load_dwordx4 s[36:39], s[0:1], 0xa8
	v_lshlrev_b32_e32 v8, 5, v2
	s_waitcnt lgkmcnt(0)
	v_mul_hi_u32 v0, s20, v8
	v_add_u32_e32 v0, v8, v0
	v_lshrrev_b32_e32 v9, s21, v0
	v_mul_hi_u32 v0, v9, s23
	v_add_u32_e32 v0, v9, v0
	v_lshrrev_b32_e32 v0, s24, v0
	v_mul_lo_u32 v2, v0, s25
	v_sub_u32_e32 v10, v9, v2
	v_mul_hi_u32 v2, v0, s26
	v_add_u32_e32 v2, v0, v2
	v_lshrrev_b32_e32 v38, s27, v2
	v_mul_lo_u32 v2, v38, s36
	v_sub_u32_e32 v40, v0, v2
	;; [unrolled: 5-line block ×3, first 2 shown]
	v_mul_hi_u32 v0, v40, s37
	v_add_u32_e32 v0, v40, v0
	v_lshrrev_b32_e32 v0, s38, v0
	v_mul_lo_u32 v0, v0, s39
	v_mad_u64_u32 v[2:3], s[20:21], s10, v10, 0
	v_sub_u32_e32 v6, v40, v0
	v_mov_b32_e32 v0, v3
	v_mad_u64_u32 v[4:5], s[10:11], s11, v10, v[0:1]
	v_mov_b32_e32 v3, v4
	v_mad_u64_u32 v[4:5], s[10:11], s12, v6, 0
	v_mov_b32_e32 v0, v5
	v_mad_u64_u32 v[6:7], s[10:11], s13, v6, v[0:1]
	v_lshl_add_u64 v[2:3], v[2:3], 3, s[30:31]
	v_mov_b32_e32 v5, v6
	v_lshl_add_u64 v[2:3], v[4:5], 3, v[2:3]
	v_mad_u64_u32 v[4:5], s[10:11], s14, v11, 0
	v_mov_b32_e32 v0, v5
	v_mad_u64_u32 v[6:7], s[10:11], s15, v11, v[0:1]
	v_mov_b32_e32 v5, v6
	v_lshl_add_u64 v[2:3], v[4:5], 3, v[2:3]
	global_load_dwordx2 v[34:35], v[2:3], off
	v_mad_u64_u32 v[2:3], s[10:11], s4, v10, 0
	v_mov_b32_e32 v4, v3
	v_mad_u64_u32 v[4:5], s[4:5], s5, v10, v[4:5]
	v_mov_b32_e32 v3, v4
	;; [unrolled: 2-line block ×3, first 2 shown]
	v_mad_u64_u32 v[6:7], s[4:5], s7, v40, v[6:7]
	v_lshl_add_u64 v[2:3], v[2:3], 2, s[28:29]
	v_mov_b32_e32 v5, v6
	v_lshl_add_u64 v[2:3], v[4:5], 2, v[2:3]
	v_mad_u64_u32 v[4:5], s[4:5], s8, v38, 0
	v_mov_b32_e32 v6, v5
	v_mad_u64_u32 v[6:7], s[4:5], s9, v38, v[6:7]
	v_mul_lo_u32 v0, v9, s22
	v_mov_b32_e32 v5, v6
	v_sub_u32_e32 v0, v8, v0
	v_lshl_add_u64 v[2:3], v[4:5], 2, v[2:3]
	v_lshl_add_u64 v[36:37], v[0:1], 2, v[2:3]
	global_load_dwordx4 v[26:29], v[36:37], off
	global_load_dwordx4 v[18:21], v[36:37], off offset:16
	global_load_dwordx4 v[10:13], v[36:37], off offset:32
	;; [unrolled: 1-line block ×7, first 2 shown]
	s_load_dwordx2 s[0:1], s[0:1], 0x80
	v_lshrrev_b32_e32 v44, 5, v0
	s_mov_b32 s6, 0x8e38e38f
	v_mov_b32_e32 v39, v1
	s_mov_b32 s7, 0xe38e38e3
	v_mov_b32_e32 v41, v1
	v_mov_b32_e32 v43, v1
	s_waitcnt vmcnt(8)
	v_mul_lo_u32 v0, v35, s16
	v_mul_lo_u32 v36, v34, s17
	v_mad_u64_u32 v[34:35], s[4:5], v34, s16, 0
	v_add3_u32 v35, v35, v36, v0
	s_waitcnt lgkmcnt(0)
	v_mad_u64_u32 v[34:35], s[4:5], s0, v38, v[34:35]
	v_mov_b32_e32 v0, v35
	v_mad_u64_u32 v[36:37], s[0:1], s1, v38, v[0:1]
	v_mov_b32_e32 v35, v36
	;; [unrolled: 2-line block ×3, first 2 shown]
	v_mul_hi_u32 v38, v34, s6
	v_mad_u64_u32 v[36:37], s[0:1], s19, v40, v[0:1]
	v_mad_u64_u32 v[38:39], s[0:1], v36, s6, v[38:39]
	v_mov_b32_e32 v40, v39
	v_mov_b32_e32 v39, v1
	v_mad_u64_u32 v[0:1], s[0:1], v34, s7, v[38:39]
	v_mov_b32_e32 v42, v1
	v_lshl_add_u64 v[0:1], v[40:41], 0, v[42:43]
	v_mad_u64_u32 v[0:1], s[0:1], v36, s7, v[0:1]
	v_alignbit_b32 v0, v1, v0, 4
	v_lshrrev_b32_e32 v35, 4, v1
	v_mad_u64_u32 v[0:1], s[0:1], v0, 18, s[2:3]
	v_mov_b32_e32 v34, v1
	v_mad_u64_u32 v[34:35], s[0:1], v35, 18, v[34:35]
	s_waitcnt vmcnt(7)
	v_cmp_lg_f32_e32 vcc, 0, v26
	v_mov_b32_e32 v1, v34
	v_mad_u64_u32 v[0:1], s[0:1], v44, 18, v[0:1]
	v_cndmask_b32_e64 v35, 0, |v26|, vcc
	v_cndmask_b32_e32 v34, 0, v26, vcc
	v_cmp_lt_f32_e64 vcc, v35, |v27|
	s_nop 1
	v_cndmask_b32_e64 v35, v35, |v27|, vcc
	v_cndmask_b32_e32 v34, v34, v27, vcc
	v_cmp_lt_f32_e64 vcc, v35, |v28|
	s_nop 1
	v_cndmask_b32_e64 v35, v35, |v28|, vcc
	v_cndmask_b32_e32 v34, v34, v28, vcc
	v_cmp_lt_f32_e64 vcc, v35, |v29|
	s_nop 1
	v_cndmask_b32_e64 v35, v35, |v29|, vcc
	v_cndmask_b32_e32 v34, v34, v29, vcc
	s_waitcnt vmcnt(6)
	v_cmp_lt_f32_e64 vcc, v35, |v18|
	s_nop 1
	v_cndmask_b32_e64 v35, v35, |v18|, vcc
	v_cndmask_b32_e32 v34, v34, v18, vcc
	v_cmp_lt_f32_e64 vcc, v35, |v19|
	s_nop 1
	v_cndmask_b32_e64 v35, v35, |v19|, vcc
	v_cndmask_b32_e32 v34, v34, v19, vcc
	v_cmp_lt_f32_e64 vcc, v35, |v20|
	s_nop 1
	v_cndmask_b32_e64 v35, v35, |v20|, vcc
	v_cndmask_b32_e32 v34, v34, v20, vcc
	v_cmp_lt_f32_e64 vcc, v35, |v21|
	s_nop 1
	v_cndmask_b32_e64 v35, v35, |v21|, vcc
	v_cndmask_b32_e32 v34, v34, v21, vcc
	s_waitcnt vmcnt(5)
	v_cmp_lt_f32_e64 vcc, v35, |v10|
	s_nop 1
	;; [unrolled: 17-line block ×4, first 2 shown]
	v_cndmask_b32_e64 v35, v35, |v30|, vcc
	v_cndmask_b32_e32 v34, v34, v30, vcc
	v_cmp_lt_f32_e64 vcc, v35, |v31|
	s_nop 1
	v_cndmask_b32_e64 v35, v35, |v31|, vcc
	v_cndmask_b32_e32 v34, v34, v31, vcc
	v_cmp_lt_f32_e64 vcc, v35, |v32|
	s_nop 1
	;; [unrolled: 4-line block ×15, first 2 shown]
	v_cndmask_b32_e32 v34, v34, v9, vcc
	v_mul_f32_e32 v35, 0xbe000000, v34
	v_div_scale_f32 v36, s[0:1], v35, v35, 1.0
	v_rcp_f32_e32 v37, v36
	s_mov_b32 s0, 0xbe000000
	v_fma_mixlo_f16 v34, v34, s0, 0
	global_store_short v[0:1], v34, off
	v_fma_f32 v38, -v36, v37, 1.0
	v_fmac_f32_e32 v37, v38, v37
	v_div_scale_f32 v38, vcc, 1.0, v35, 1.0
	v_mul_f32_e32 v39, v38, v37
	v_fma_f32 v40, -v36, v39, v38
	v_fmac_f32_e32 v39, v40, v37
	v_fma_f32 v36, -v36, v39, v38
	v_div_fmas_f32 v36, v36, v37, v39
	v_div_fixup_f32 v36, v36, v35, 1.0
	v_cmp_neq_f32_e32 vcc, 0, v35
	s_mov_b32 s0, 0
	s_mov_b32 s1, 0x402e0000
	v_cndmask_b32_e32 v36, 0, v36, vcc
	v_fmaak_f32 v26, v26, v36, 0x41080000
	v_cvt_i32_f32_e32 v26, v26
	v_fmaak_f32 v27, v27, v36, 0x41080000
	v_cvt_i32_f32_e32 v27, v27
	v_fmaak_f32 v28, v28, v36, 0x41080000
	v_cvt_f64_i32_e32 v[34:35], v26
	v_fmaak_f32 v26, v30, v36, 0x41080000
	v_cvt_i32_f32_e32 v26, v26
	v_min_f64 v[34:35], v[34:35], s[0:1]
	v_cvt_i32_f64_e32 v30, v[34:35]
	v_cvt_i32_f32_e32 v28, v28
	v_cvt_f64_i32_e32 v[34:35], v26
	v_min_f64 v[34:35], v[34:35], s[0:1]
	v_cvt_i32_f64_e32 v26, v[34:35]
	v_lshlrev_b16_e32 v26, 4, v26
	v_or_b32_e32 v26, v26, v30
	v_fmaak_f32 v30, v31, v36, 0x41080000
	v_cvt_i32_f32_e32 v34, v30
	v_cvt_f64_i32_e32 v[30:31], v27
	v_min_f64 v[30:31], v[30:31], s[0:1]
	v_cvt_i32_f64_e32 v27, v[30:31]
	v_cvt_f64_i32_e32 v[30:31], v34
	v_min_f64 v[30:31], v[30:31], s[0:1]
	v_cvt_i32_f64_e32 v34, v[30:31]
	v_fmaak_f32 v30, v32, v36, 0x41080000
	v_cvt_i32_f32_e32 v32, v30
	v_cvt_f64_i32_e32 v[30:31], v28
	v_min_f64 v[30:31], v[30:31], s[0:1]
	v_cvt_i32_f64_e32 v28, v[30:31]
	v_cvt_f64_i32_e32 v[30:31], v32
	v_min_f64 v[30:31], v[30:31], s[0:1]
	v_cvt_i32_f64_e32 v30, v[30:31]
	v_fmaak_f32 v29, v29, v36, 0x41080000
	v_lshlrev_b16_e32 v30, 4, v30
	v_cvt_i32_f32_e32 v29, v29
	v_or_b32_e32 v30, v30, v28
	v_fmaak_f32 v28, v33, v36, 0x41080000
	v_cvt_i32_f32_e32 v31, v28
	v_fmaak_f32 v18, v18, v36, 0x41080000
	v_cvt_f64_i32_e32 v[28:29], v29
	v_cvt_i32_f32_e32 v18, v18
	v_min_f64 v[28:29], v[28:29], s[0:1]
	v_fmaak_f32 v22, v22, v36, 0x41080000
	v_cvt_i32_f64_e32 v32, v[28:29]
	v_cvt_f64_i32_e32 v[28:29], v31
	v_cvt_i32_f32_e32 v22, v22
	v_min_f64 v[28:29], v[28:29], s[0:1]
	v_cvt_i32_f64_e32 v31, v[28:29]
	v_cvt_f64_i32_e32 v[28:29], v18
	v_min_f64 v[28:29], v[28:29], s[0:1]
	v_cvt_i32_f64_e32 v18, v[28:29]
	v_cvt_f64_i32_e32 v[28:29], v22
	v_min_f64 v[28:29], v[28:29], s[0:1]
	v_cvt_i32_f64_e32 v22, v[28:29]
	v_fmaak_f32 v19, v19, v36, 0x41080000
	v_lshlrev_b16_e32 v22, 4, v22
	v_cvt_i32_f32_e32 v19, v19
	v_or_b32_e32 v22, v22, v18
	v_fmaak_f32 v18, v23, v36, 0x41080000
	v_cvt_i32_f32_e32 v23, v18
	v_cvt_f64_i32_e32 v[18:19], v19
	v_min_f64 v[18:19], v[18:19], s[0:1]
	v_cvt_i32_f64_e32 v28, v[18:19]
	v_cvt_f64_i32_e32 v[18:19], v23
	v_fmaak_f32 v20, v20, v36, 0x41080000
	v_min_f64 v[18:19], v[18:19], s[0:1]
	v_cvt_i32_f32_e32 v20, v20
	v_cvt_i32_f64_e32 v23, v[18:19]
	v_fmaak_f32 v18, v24, v36, 0x41080000
	v_cvt_i32_f32_e32 v24, v18
	v_cvt_f64_i32_e32 v[18:19], v20
	v_min_f64 v[18:19], v[18:19], s[0:1]
	v_cvt_i32_f64_e32 v20, v[18:19]
	v_cvt_f64_i32_e32 v[18:19], v24
	v_min_f64 v[18:19], v[18:19], s[0:1]
	v_cvt_i32_f64_e32 v18, v[18:19]
	v_fmaak_f32 v19, v21, v36, 0x41080000
	v_lshlrev_b16_e32 v18, 4, v18
	v_cvt_i32_f32_e32 v19, v19
	v_or_b32_e32 v20, v18, v20
	v_fmaak_f32 v18, v25, v36, 0x41080000
	v_cvt_i32_f32_e32 v21, v18
	v_fmaak_f32 v10, v10, v36, 0x41080000
	v_cvt_f64_i32_e32 v[18:19], v19
	v_cvt_i32_f32_e32 v10, v10
	v_min_f64 v[18:19], v[18:19], s[0:1]
	v_fmaak_f32 v14, v14, v36, 0x41080000
	v_cvt_i32_f64_e32 v24, v[18:19]
	v_cvt_f64_i32_e32 v[18:19], v21
	v_cvt_i32_f32_e32 v14, v14
	v_min_f64 v[18:19], v[18:19], s[0:1]
	v_cvt_i32_f64_e32 v21, v[18:19]
	v_cvt_f64_i32_e32 v[18:19], v10
	v_min_f64 v[18:19], v[18:19], s[0:1]
	v_cvt_i32_f64_e32 v10, v[18:19]
	v_cvt_f64_i32_e32 v[18:19], v14
	v_min_f64 v[18:19], v[18:19], s[0:1]
	v_cvt_i32_f64_e32 v14, v[18:19]
	v_fmaak_f32 v11, v11, v36, 0x41080000
	v_lshlrev_b16_e32 v14, 4, v14
	v_cvt_i32_f32_e32 v11, v11
	v_or_b32_e32 v14, v14, v10
	v_fmaak_f32 v10, v15, v36, 0x41080000
	v_cvt_i32_f32_e32 v15, v10
	v_cvt_f64_i32_e32 v[10:11], v11
	v_min_f64 v[10:11], v[10:11], s[0:1]
	v_cvt_i32_f64_e32 v18, v[10:11]
	v_cvt_f64_i32_e32 v[10:11], v15
	v_fmaak_f32 v12, v12, v36, 0x41080000
	v_min_f64 v[10:11], v[10:11], s[0:1]
	v_cvt_i32_f32_e32 v12, v12
	;; [unrolled: 44-line block ×3, first 2 shown]
	v_cvt_i32_f64_e32 v7, v[2:3]
	v_fmaak_f32 v2, v8, v36, 0x41080000
	v_cvt_i32_f32_e32 v8, v2
	v_cvt_f64_i32_e32 v[2:3], v4
	v_min_f64 v[2:3], v[2:3], s[0:1]
	v_cvt_i32_f64_e32 v4, v[2:3]
	v_cvt_f64_i32_e32 v[2:3], v8
	v_min_f64 v[2:3], v[2:3], s[0:1]
	v_cvt_i32_f64_e32 v2, v[2:3]
	v_fmaak_f32 v3, v5, v36, 0x41080000
	v_mov_b32_e32 v37, 0x41080000
	v_cvt_i32_f32_e32 v3, v3
	v_fmac_f32_e32 v37, v9, v36
	v_cvt_i32_f32_e32 v5, v37
	v_lshlrev_b16_e32 v2, 4, v2
	v_or_b32_e32 v4, v2, v4
	v_cvt_f64_i32_e32 v[2:3], v3
	v_min_f64 v[2:3], v[2:3], s[0:1]
	v_cvt_i32_f64_e32 v8, v[2:3]
	v_cvt_f64_i32_e32 v[2:3], v5
	v_min_f64 v[2:3], v[2:3], s[0:1]
	v_cvt_i32_f64_e32 v2, v[2:3]
	v_lshlrev_b16_e32 v3, 8, v10
	v_lshlrev_b16_e32 v5, 12, v7
	v_or_b32_e32 v3, v5, v3
	v_lshlrev_b16_e32 v5, 8, v8
	v_lshlrev_b16_e32 v2, 12, v2
	s_movk_i32 s0, 0xff
	v_or_b32_e32 v2, v2, v5
	v_bitop3_b16 v2, v4, v2, s0 bitop3:0xec
	v_bitop3_b16 v3, v6, v3, s0 bitop3:0xec
	v_lshlrev_b32_e32 v2, 16, v2
	v_or_b32_sdwa v5, v3, v2 dst_sel:DWORD dst_unused:UNUSED_PAD src0_sel:WORD_0 src1_sel:DWORD
	v_lshlrev_b16_e32 v2, 8, v18
	v_lshlrev_b16_e32 v3, 12, v15
	v_or_b32_e32 v2, v3, v2
	v_lshlrev_b16_e32 v3, 8, v16
	v_lshlrev_b16_e32 v4, 12, v13
	v_or_b32_e32 v3, v4, v3
	v_bitop3_b16 v3, v12, v3, s0 bitop3:0xec
	v_bitop3_b16 v2, v14, v2, s0 bitop3:0xec
	v_lshlrev_b32_e32 v3, 16, v3
	v_or_b32_sdwa v4, v2, v3 dst_sel:DWORD dst_unused:UNUSED_PAD src0_sel:WORD_0 src1_sel:DWORD
	v_lshlrev_b16_e32 v2, 8, v28
	v_lshlrev_b16_e32 v3, 12, v23
	v_or_b32_e32 v2, v3, v2
	v_lshlrev_b16_e32 v3, 8, v24
	v_lshlrev_b16_e32 v6, 12, v21
	v_or_b32_e32 v3, v6, v3
	v_bitop3_b16 v3, v20, v3, s0 bitop3:0xec
	v_bitop3_b16 v2, v22, v2, s0 bitop3:0xec
	v_lshlrev_b32_e32 v3, 16, v3
	v_or_b32_sdwa v3, v2, v3 dst_sel:DWORD dst_unused:UNUSED_PAD src0_sel:WORD_0 src1_sel:DWORD
	v_lshlrev_b16_e32 v2, 8, v27
	v_lshlrev_b16_e32 v6, 12, v34
	v_or_b32_e32 v2, v6, v2
	v_lshlrev_b16_e32 v6, 8, v32
	v_lshlrev_b16_e32 v7, 12, v31
	v_or_b32_e32 v6, v7, v6
	v_bitop3_b16 v6, v30, v6, s0 bitop3:0xec
	v_bitop3_b16 v2, v26, v2, s0 bitop3:0xec
	v_lshlrev_b32_e32 v6, 16, v6
	v_or_b32_sdwa v2, v2, v6 dst_sel:DWORD dst_unused:UNUSED_PAD src0_sel:WORD_0 src1_sel:DWORD
	global_store_dwordx4 v[0:1], v[2:5], off offset:2
.LBB3_2:
	s_endpgm
	.section	.rodata,"a",@progbits
	.p2align	6, 0x0
	.amdhsa_kernel _ZL16k_set_rows_quantIl10block_q4_0Li32ETnPFvPKfPT0_EXadL_ZL23quantize_f32_q4_0_blockS2_PS0_EEEvS2_PKT_S4_llllllllllllll15HIP_vector_typeIjLj3EESC_SC_SC_SC_
		.amdhsa_group_segment_fixed_size 0
		.amdhsa_private_segment_fixed_size 0
		.amdhsa_kernarg_size 456
		.amdhsa_user_sgpr_count 2
		.amdhsa_user_sgpr_dispatch_ptr 0
		.amdhsa_user_sgpr_queue_ptr 0
		.amdhsa_user_sgpr_kernarg_segment_ptr 1
		.amdhsa_user_sgpr_dispatch_id 0
		.amdhsa_user_sgpr_kernarg_preload_length 0
		.amdhsa_user_sgpr_kernarg_preload_offset 0
		.amdhsa_user_sgpr_private_segment_size 0
		.amdhsa_uses_dynamic_stack 0
		.amdhsa_enable_private_segment 0
		.amdhsa_system_sgpr_workgroup_id_x 1
		.amdhsa_system_sgpr_workgroup_id_y 0
		.amdhsa_system_sgpr_workgroup_id_z 0
		.amdhsa_system_sgpr_workgroup_info 0
		.amdhsa_system_vgpr_workitem_id 0
		.amdhsa_next_free_vgpr 45
		.amdhsa_next_free_sgpr 40
		.amdhsa_accum_offset 48
		.amdhsa_reserve_vcc 1
		.amdhsa_float_round_mode_32 0
		.amdhsa_float_round_mode_16_64 0
		.amdhsa_float_denorm_mode_32 3
		.amdhsa_float_denorm_mode_16_64 3
		.amdhsa_dx10_clamp 1
		.amdhsa_ieee_mode 1
		.amdhsa_fp16_overflow 0
		.amdhsa_tg_split 0
		.amdhsa_exception_fp_ieee_invalid_op 0
		.amdhsa_exception_fp_denorm_src 0
		.amdhsa_exception_fp_ieee_div_zero 0
		.amdhsa_exception_fp_ieee_overflow 0
		.amdhsa_exception_fp_ieee_underflow 0
		.amdhsa_exception_fp_ieee_inexact 0
		.amdhsa_exception_int_div_zero 0
	.end_amdhsa_kernel
	.section	.text._ZL16k_set_rows_quantIl10block_q4_0Li32ETnPFvPKfPT0_EXadL_ZL23quantize_f32_q4_0_blockS2_PS0_EEEvS2_PKT_S4_llllllllllllll15HIP_vector_typeIjLj3EESC_SC_SC_SC_,"axG",@progbits,_ZL16k_set_rows_quantIl10block_q4_0Li32ETnPFvPKfPT0_EXadL_ZL23quantize_f32_q4_0_blockS2_PS0_EEEvS2_PKT_S4_llllllllllllll15HIP_vector_typeIjLj3EESC_SC_SC_SC_,comdat
.Lfunc_end3:
	.size	_ZL16k_set_rows_quantIl10block_q4_0Li32ETnPFvPKfPT0_EXadL_ZL23quantize_f32_q4_0_blockS2_PS0_EEEvS2_PKT_S4_llllllllllllll15HIP_vector_typeIjLj3EESC_SC_SC_SC_, .Lfunc_end3-_ZL16k_set_rows_quantIl10block_q4_0Li32ETnPFvPKfPT0_EXadL_ZL23quantize_f32_q4_0_blockS2_PS0_EEEvS2_PKT_S4_llllllllllllll15HIP_vector_typeIjLj3EESC_SC_SC_SC_
                                        ; -- End function
	.set _ZL16k_set_rows_quantIl10block_q4_0Li32ETnPFvPKfPT0_EXadL_ZL23quantize_f32_q4_0_blockS2_PS0_EEEvS2_PKT_S4_llllllllllllll15HIP_vector_typeIjLj3EESC_SC_SC_SC_.num_vgpr, 45
	.set _ZL16k_set_rows_quantIl10block_q4_0Li32ETnPFvPKfPT0_EXadL_ZL23quantize_f32_q4_0_blockS2_PS0_EEEvS2_PKT_S4_llllllllllllll15HIP_vector_typeIjLj3EESC_SC_SC_SC_.num_agpr, 0
	.set _ZL16k_set_rows_quantIl10block_q4_0Li32ETnPFvPKfPT0_EXadL_ZL23quantize_f32_q4_0_blockS2_PS0_EEEvS2_PKT_S4_llllllllllllll15HIP_vector_typeIjLj3EESC_SC_SC_SC_.numbered_sgpr, 40
	.set _ZL16k_set_rows_quantIl10block_q4_0Li32ETnPFvPKfPT0_EXadL_ZL23quantize_f32_q4_0_blockS2_PS0_EEEvS2_PKT_S4_llllllllllllll15HIP_vector_typeIjLj3EESC_SC_SC_SC_.num_named_barrier, 0
	.set _ZL16k_set_rows_quantIl10block_q4_0Li32ETnPFvPKfPT0_EXadL_ZL23quantize_f32_q4_0_blockS2_PS0_EEEvS2_PKT_S4_llllllllllllll15HIP_vector_typeIjLj3EESC_SC_SC_SC_.private_seg_size, 0
	.set _ZL16k_set_rows_quantIl10block_q4_0Li32ETnPFvPKfPT0_EXadL_ZL23quantize_f32_q4_0_blockS2_PS0_EEEvS2_PKT_S4_llllllllllllll15HIP_vector_typeIjLj3EESC_SC_SC_SC_.uses_vcc, 1
	.set _ZL16k_set_rows_quantIl10block_q4_0Li32ETnPFvPKfPT0_EXadL_ZL23quantize_f32_q4_0_blockS2_PS0_EEEvS2_PKT_S4_llllllllllllll15HIP_vector_typeIjLj3EESC_SC_SC_SC_.uses_flat_scratch, 0
	.set _ZL16k_set_rows_quantIl10block_q4_0Li32ETnPFvPKfPT0_EXadL_ZL23quantize_f32_q4_0_blockS2_PS0_EEEvS2_PKT_S4_llllllllllllll15HIP_vector_typeIjLj3EESC_SC_SC_SC_.has_dyn_sized_stack, 0
	.set _ZL16k_set_rows_quantIl10block_q4_0Li32ETnPFvPKfPT0_EXadL_ZL23quantize_f32_q4_0_blockS2_PS0_EEEvS2_PKT_S4_llllllllllllll15HIP_vector_typeIjLj3EESC_SC_SC_SC_.has_recursion, 0
	.set _ZL16k_set_rows_quantIl10block_q4_0Li32ETnPFvPKfPT0_EXadL_ZL23quantize_f32_q4_0_blockS2_PS0_EEEvS2_PKT_S4_llllllllllllll15HIP_vector_typeIjLj3EESC_SC_SC_SC_.has_indirect_call, 0
	.section	.AMDGPU.csdata,"",@progbits
; Kernel info:
; codeLenInByte = 2836
; TotalNumSgprs: 46
; NumVgprs: 45
; NumAgprs: 0
; TotalNumVgprs: 45
; ScratchSize: 0
; MemoryBound: 0
; FloatMode: 240
; IeeeMode: 1
; LDSByteSize: 0 bytes/workgroup (compile time only)
; SGPRBlocks: 5
; VGPRBlocks: 5
; NumSGPRsForWavesPerEU: 46
; NumVGPRsForWavesPerEU: 45
; AccumOffset: 48
; Occupancy: 8
; WaveLimiterHint : 1
; COMPUTE_PGM_RSRC2:SCRATCH_EN: 0
; COMPUTE_PGM_RSRC2:USER_SGPR: 2
; COMPUTE_PGM_RSRC2:TRAP_HANDLER: 0
; COMPUTE_PGM_RSRC2:TGID_X_EN: 1
; COMPUTE_PGM_RSRC2:TGID_Y_EN: 0
; COMPUTE_PGM_RSRC2:TGID_Z_EN: 0
; COMPUTE_PGM_RSRC2:TIDIG_COMP_CNT: 0
; COMPUTE_PGM_RSRC3_GFX90A:ACCUM_OFFSET: 11
; COMPUTE_PGM_RSRC3_GFX90A:TG_SPLIT: 0
	.section	.text._ZL16k_set_rows_quantIl10block_q4_1Li32ETnPFvPKfPT0_EXadL_ZL23quantize_f32_q4_1_blockS2_PS0_EEEvS2_PKT_S4_llllllllllllll15HIP_vector_typeIjLj3EESC_SC_SC_SC_,"axG",@progbits,_ZL16k_set_rows_quantIl10block_q4_1Li32ETnPFvPKfPT0_EXadL_ZL23quantize_f32_q4_1_blockS2_PS0_EEEvS2_PKT_S4_llllllllllllll15HIP_vector_typeIjLj3EESC_SC_SC_SC_,comdat
	.globl	_ZL16k_set_rows_quantIl10block_q4_1Li32ETnPFvPKfPT0_EXadL_ZL23quantize_f32_q4_1_blockS2_PS0_EEEvS2_PKT_S4_llllllllllllll15HIP_vector_typeIjLj3EESC_SC_SC_SC_ ; -- Begin function _ZL16k_set_rows_quantIl10block_q4_1Li32ETnPFvPKfPT0_EXadL_ZL23quantize_f32_q4_1_blockS2_PS0_EEEvS2_PKT_S4_llllllllllllll15HIP_vector_typeIjLj3EESC_SC_SC_SC_
	.p2align	8
	.type	_ZL16k_set_rows_quantIl10block_q4_1Li32ETnPFvPKfPT0_EXadL_ZL23quantize_f32_q4_1_blockS2_PS0_EEEvS2_PKT_S4_llllllllllllll15HIP_vector_typeIjLj3EESC_SC_SC_SC_,@function
_ZL16k_set_rows_quantIl10block_q4_1Li32ETnPFvPKfPT0_EXadL_ZL23quantize_f32_q4_1_blockS2_PS0_EEEvS2_PKT_S4_llllllllllllll15HIP_vector_typeIjLj3EESC_SC_SC_SC_: ; @_ZL16k_set_rows_quantIl10block_q4_1Li32ETnPFvPKfPT0_EXadL_ZL23quantize_f32_q4_1_blockS2_PS0_EEEvS2_PKT_S4_llllllllllllll15HIP_vector_typeIjLj3EESC_SC_SC_SC_
; %bb.0:
	s_load_dword s3, s[0:1], 0xd4
	s_load_dwordx2 s[4:5], s[0:1], 0x18
	v_mov_b32_e32 v1, 0
	v_mov_b32_e32 v2, s2
	s_waitcnt lgkmcnt(0)
	s_and_b32 s3, s3, 0xffff
	v_mad_u64_u32 v[2:3], s[2:3], s3, v2, v[0:1]
	v_cmp_gt_i64_e32 vcc, s[4:5], v[2:3]
	s_and_saveexec_b64 s[2:3], vcc
	s_cbranch_execz .LBB4_2
; %bb.1:
	s_load_dwordx4 s[28:31], s[0:1], 0x0
	s_load_dwordx2 s[2:3], s[0:1], 0x10
	s_load_dwordx16 s[4:19], s[0:1], 0x40
	s_load_dwordx8 s[20:27], s[0:1], 0x88
	s_load_dword s33, s[0:1], 0xc0
	s_load_dwordx2 s[34:35], s[0:1], 0xb8
	s_load_dwordx4 s[36:39], s[0:1], 0xa8
	v_lshlrev_b32_e32 v8, 5, v2
	s_waitcnt lgkmcnt(0)
	v_mul_hi_u32 v0, s20, v8
	v_add_u32_e32 v0, v8, v0
	v_lshrrev_b32_e32 v9, s21, v0
	v_mul_hi_u32 v0, v9, s23
	v_add_u32_e32 v0, v9, v0
	v_lshrrev_b32_e32 v0, s24, v0
	v_mul_lo_u32 v2, v0, s25
	v_sub_u32_e32 v12, v9, v2
	v_mul_hi_u32 v2, v0, s26
	v_add_u32_e32 v2, v0, v2
	v_lshrrev_b32_e32 v18, s27, v2
	v_mul_lo_u32 v2, v18, s36
	v_sub_u32_e32 v20, v0, v2
	;; [unrolled: 5-line block ×3, first 2 shown]
	v_mul_hi_u32 v0, v20, s37
	v_add_u32_e32 v0, v20, v0
	v_lshrrev_b32_e32 v0, s38, v0
	v_mul_lo_u32 v0, v0, s39
	v_mad_u64_u32 v[2:3], s[20:21], s10, v12, 0
	v_sub_u32_e32 v6, v20, v0
	v_mov_b32_e32 v0, v3
	v_mad_u64_u32 v[4:5], s[10:11], s11, v12, v[0:1]
	v_mov_b32_e32 v3, v4
	v_mad_u64_u32 v[4:5], s[10:11], s12, v6, 0
	;; [unrolled: 2-line block ×3, first 2 shown]
	v_lshl_add_u64 v[2:3], v[2:3], 3, s[30:31]
	v_mov_b32_e32 v5, v6
	v_lshl_add_u64 v[2:3], v[4:5], 3, v[2:3]
	v_mad_u64_u32 v[4:5], s[10:11], s14, v10, 0
	v_mov_b32_e32 v0, v5
	v_mad_u64_u32 v[6:7], s[10:11], s15, v10, v[0:1]
	v_mov_b32_e32 v5, v6
	v_lshl_add_u64 v[2:3], v[4:5], 3, v[2:3]
	global_load_dwordx2 v[10:11], v[2:3], off
	v_mad_u64_u32 v[2:3], s[10:11], s4, v12, 0
	v_mov_b32_e32 v4, v3
	v_mad_u64_u32 v[4:5], s[4:5], s5, v12, v[4:5]
	v_mov_b32_e32 v3, v4
	;; [unrolled: 2-line block ×3, first 2 shown]
	v_mad_u64_u32 v[6:7], s[4:5], s7, v20, v[6:7]
	v_lshl_add_u64 v[2:3], v[2:3], 2, s[28:29]
	v_mov_b32_e32 v5, v6
	v_lshl_add_u64 v[2:3], v[4:5], 2, v[2:3]
	v_mad_u64_u32 v[4:5], s[4:5], s8, v18, 0
	v_mov_b32_e32 v6, v5
	v_mad_u64_u32 v[6:7], s[4:5], s9, v18, v[6:7]
	v_mul_lo_u32 v0, v9, s22
	v_mov_b32_e32 v5, v6
	v_sub_u32_e32 v0, v8, v0
	v_lshl_add_u64 v[2:3], v[4:5], 2, v[2:3]
	v_lshl_add_u64 v[38:39], v[0:1], 2, v[2:3]
	global_load_dwordx4 v[22:25], v[38:39], off
	global_load_dwordx4 v[14:17], v[38:39], off offset:16
	global_load_dwordx4 v[6:9], v[38:39], off offset:32
	global_load_dwordx4 v[2:5], v[38:39], off offset:48
	s_load_dwordx2 s[0:1], s[0:1], 0x80
	v_mov_b32_e32 v13, v1
	global_load_dwordx4 v[26:29], v[38:39], off offset:80
	global_load_dwordx4 v[30:33], v[38:39], off offset:64
	s_mov_b32 s6, 0xcccccccd
	v_mov_b32_e32 v19, v1
	s_mov_b32 s7, 0xcccccccc
	v_mov_b32_e32 v21, v1
	s_mov_b32 s9, 0xff7fffff
	s_mov_b32 s8, 0x7f7fffff
	v_mov_b32_e32 v37, 0xff7fffff
	v_lshrrev_b32_e32 v0, 5, v0
	s_waitcnt vmcnt(6)
	v_mul_lo_u32 v12, v11, s16
	v_mul_lo_u32 v34, v10, s17
	v_mad_u64_u32 v[10:11], s[4:5], v10, s16, 0
	v_add3_u32 v11, v11, v34, v12
	s_waitcnt lgkmcnt(0)
	v_mad_u64_u32 v[10:11], s[4:5], s0, v18, v[10:11]
	v_mov_b32_e32 v12, v11
	v_mad_u64_u32 v[34:35], s[0:1], s1, v18, v[12:13]
	v_mov_b32_e32 v11, v34
	v_mad_u64_u32 v[10:11], s[0:1], s18, v20, v[10:11]
	v_mov_b32_e32 v18, v11
	v_mul_hi_u32 v12, v10, s6
	v_mad_u64_u32 v[34:35], s[0:1], s19, v20, v[18:19]
	v_mad_u64_u32 v[12:13], s[0:1], v34, s6, v[12:13]
	v_mov_b32_e32 v18, v13
	v_mov_b32_e32 v13, v1
	v_mad_u64_u32 v[10:11], s[0:1], v10, s7, v[12:13]
	v_mov_b32_e32 v20, v11
	v_lshl_add_u64 v[10:11], v[18:19], 0, v[20:21]
	v_mad_u64_u32 v[10:11], s[0:1], v34, s7, v[10:11]
	v_alignbit_b32 v1, v11, v10, 4
	s_waitcnt vmcnt(5)
	v_cmp_lt_f32_e32 vcc, s9, v22
	v_mad_u64_u32 v[34:35], s[0:1], v1, 20, s[2:3]
	s_nop 0
	v_cndmask_b32_e32 v1, v37, v22, vcc
	v_mov_b32_e32 v10, 0x7f7fffff
	v_cmp_gt_f32_e32 vcc, s8, v22
	v_lshrrev_b32_e32 v40, 4, v11
	v_mov_b32_e32 v36, v35
	v_cndmask_b32_e32 v10, v10, v22, vcc
	v_cmp_gt_f32_e32 vcc, v23, v1
	s_mov_b32 s2, 0x41700000
	s_nop 0
	v_cndmask_b32_e32 v1, v1, v23, vcc
	v_cmp_gt_f32_e32 vcc, v10, v23
	s_nop 1
	v_cndmask_b32_e32 v10, v10, v23, vcc
	v_cmp_gt_f32_e32 vcc, v24, v1
	;; [unrolled: 3-line block ×5, first 2 shown]
	s_nop 1
	v_cndmask_b32_e32 v35, v10, v25, vcc
	global_load_dwordx4 v[10:13], v[38:39], off offset:112
	global_load_dwordx4 v[18:21], v[38:39], off offset:96
	s_waitcnt vmcnt(6)
	v_cmp_gt_f32_e32 vcc, v14, v1
	s_nop 1
	v_cndmask_b32_e32 v1, v1, v14, vcc
	v_cmp_gt_f32_e32 vcc, v35, v14
	s_nop 1
	v_cndmask_b32_e32 v35, v35, v14, vcc
	;; [unrolled: 3-line block ×8, first 2 shown]
	s_waitcnt vmcnt(5)
	v_cmp_gt_f32_e32 vcc, v6, v1
	s_nop 1
	v_cndmask_b32_e32 v1, v1, v6, vcc
	v_cmp_gt_f32_e32 vcc, v35, v6
	s_nop 1
	v_cndmask_b32_e32 v35, v35, v6, vcc
	;; [unrolled: 3-line block ×3, first 2 shown]
	v_cmp_lt_f32_e32 vcc, v7, v35
	s_nop 1
	v_cndmask_b32_e32 v35, v35, v7, vcc
	v_cmp_gt_f32_e32 vcc, v8, v1
	s_nop 1
	v_cndmask_b32_e32 v1, v1, v8, vcc
	v_cmp_gt_f32_e32 vcc, v35, v8
	;; [unrolled: 3-line block ×4, first 2 shown]
	s_nop 1
	v_cndmask_b32_e32 v35, v35, v9, vcc
	s_waitcnt vmcnt(4)
	v_cmp_gt_f32_e32 vcc, v2, v1
	s_nop 1
	v_cndmask_b32_e32 v1, v1, v2, vcc
	v_cmp_gt_f32_e32 vcc, v35, v2
	s_nop 1
	v_cndmask_b32_e32 v35, v35, v2, vcc
	;; [unrolled: 3-line block ×8, first 2 shown]
	s_waitcnt vmcnt(2)
	v_cmp_gt_f32_e32 vcc, v30, v1
	s_nop 1
	v_cndmask_b32_e32 v1, v1, v30, vcc
	v_cmp_gt_f32_e32 vcc, v35, v30
	s_nop 1
	v_cndmask_b32_e32 v35, v35, v30, vcc
	;; [unrolled: 3-line block ×8, first 2 shown]
	v_cmp_lt_f32_e32 vcc, v26, v35
	s_nop 1
	v_cndmask_b32_e32 v35, v35, v26, vcc
	v_cmp_gt_f32_e32 vcc, v26, v1
	s_nop 1
	v_cndmask_b32_e32 v1, v1, v26, vcc
	v_cmp_gt_f32_e32 vcc, v35, v27
	;; [unrolled: 3-line block ×7, first 2 shown]
	s_nop 1
	v_cndmask_b32_e32 v1, v1, v29, vcc
	s_waitcnt vmcnt(0)
	v_cmp_gt_f32_e32 vcc, v35, v18
	s_nop 1
	v_cndmask_b32_e32 v35, v35, v18, vcc
	v_cmp_gt_f32_e32 vcc, v18, v1
	s_nop 1
	v_cndmask_b32_e32 v1, v1, v18, vcc
	;; [unrolled: 3-line block ×15, first 2 shown]
	v_cmp_gt_f32_e32 vcc, v13, v1
	v_mad_u64_u32 v[38:39], s[0:1], v40, 20, v[36:37]
	s_nop 0
	v_cndmask_b32_e32 v1, v1, v13, vcc
	v_sub_f32_e32 v1, v1, v37
	v_div_scale_f32 v41, s[0:1], s2, s2, v1
	v_rcp_f32_e32 v42, v41
	v_mov_b32_e32 v35, v38
	v_sub_f32_e32 v22, v22, v37
	v_sub_f32_e32 v30, v30, v37
	v_fma_f32 v36, -v41, v42, 1.0
	v_fmac_f32_e32 v42, v36, v42
	v_div_scale_f32 v36, vcc, v1, s2, v1
	v_mul_f32_e32 v38, v36, v42
	v_fma_f32 v39, -v41, v38, v36
	v_fmac_f32_e32 v38, v39, v42
	v_fma_f32 v36, -v41, v38, v36
	v_div_fmas_f32 v36, v36, v42, v38
	v_div_fixup_f32 v36, v36, s2, v1
	v_div_scale_f32 v38, s[0:1], v36, v36, 1.0
	v_rcp_f32_e32 v39, v38
	v_mad_u64_u32 v[0:1], s[0:1], v0, 20, v[34:35]
	s_mov_b32 s0, 0
	v_fma_f32 v34, -v38, v39, 1.0
	v_fmac_f32_e32 v39, v34, v39
	v_div_scale_f32 v34, vcc, 1.0, v36, 1.0
	v_mul_f32_e32 v35, v34, v39
	v_fma_f32 v40, -v38, v35, v34
	v_fmac_f32_e32 v35, v40, v39
	v_fma_f32 v34, -v38, v35, v34
	v_div_fmas_f32 v34, v34, v39, v35
	v_div_fixup_f32 v34, v34, v36, 1.0
	v_cmp_neq_f32_e32 vcc, 0, v36
	s_mov_b32 s1, 0x402e0000
	v_sub_f32_e32 v23, v23, v37
	v_cndmask_b32_e32 v34, 0, v34, vcc
	v_fma_f32 v22, v22, v34, 0.5
	v_cvt_i32_f32_e32 v22, v22
	v_fma_f32 v23, v23, v34, 0.5
	v_cvt_i32_f32_e32 v23, v23
	v_cvt_pk_f16_f32 v35, v36, v37
	v_cvt_f64_i32_e32 v[38:39], v22
	v_fma_f32 v22, v30, v34, 0.5
	v_cvt_i32_f32_e32 v22, v22
	v_min_f64 v[38:39], v[38:39], s[0:1]
	v_cvt_i32_f64_e32 v30, v[38:39]
	global_store_dword v[0:1], v35, off
	v_cvt_f64_i32_e32 v[38:39], v22
	v_min_f64 v[38:39], v[38:39], s[0:1]
	v_cvt_i32_f64_e32 v22, v[38:39]
	v_lshlrev_b16_e32 v22, 4, v22
	v_or_b32_e32 v22, v22, v30
	v_sub_f32_e32 v30, v31, v37
	v_fma_f32 v30, v30, v34, 0.5
	v_cvt_i32_f32_e32 v35, v30
	v_cvt_f64_i32_e32 v[30:31], v23
	v_min_f64 v[30:31], v[30:31], s[0:1]
	v_cvt_i32_f64_e32 v23, v[30:31]
	v_cvt_f64_i32_e32 v[30:31], v35
	v_sub_f32_e32 v24, v24, v37
	v_min_f64 v[30:31], v[30:31], s[0:1]
	v_fma_f32 v24, v24, v34, 0.5
	v_cvt_i32_f64_e32 v30, v[30:31]
	v_cvt_i32_f32_e32 v24, v24
	v_sub_f32_e32 v31, v32, v37
	v_fma_f32 v31, v31, v34, 0.5
	v_cvt_i32_f32_e32 v31, v31
	v_cvt_f64_i32_e32 v[38:39], v24
	v_min_f64 v[38:39], v[38:39], s[0:1]
	v_cvt_i32_f64_e32 v24, v[38:39]
	v_cvt_f64_i32_e32 v[38:39], v31
	v_min_f64 v[38:39], v[38:39], s[0:1]
	v_cvt_i32_f64_e32 v31, v[38:39]
	v_sub_f32_e32 v25, v25, v37
	v_lshlrev_b16_e32 v31, 4, v31
	v_fma_f32 v25, v25, v34, 0.5
	v_or_b32_e32 v24, v31, v24
	v_cvt_i32_f32_e32 v25, v25
	v_sub_f32_e32 v31, v33, v37
	v_fma_f32 v31, v31, v34, 0.5
	v_cvt_i32_f32_e32 v31, v31
	v_sub_f32_e32 v14, v14, v37
	v_fma_f32 v14, v14, v34, 0.5
	v_cvt_f64_i32_e32 v[32:33], v25
	v_cvt_i32_f32_e32 v14, v14
	v_sub_f32_e32 v26, v26, v37
	v_min_f64 v[32:33], v[32:33], s[0:1]
	v_fma_f32 v26, v26, v34, 0.5
	v_cvt_i32_f64_e32 v25, v[32:33]
	v_cvt_f64_i32_e32 v[32:33], v31
	v_cvt_i32_f32_e32 v26, v26
	v_min_f64 v[32:33], v[32:33], s[0:1]
	v_cvt_i32_f64_e32 v31, v[32:33]
	v_cvt_f64_i32_e32 v[32:33], v14
	v_min_f64 v[32:33], v[32:33], s[0:1]
	v_cvt_i32_f64_e32 v14, v[32:33]
	v_cvt_f64_i32_e32 v[32:33], v26
	v_min_f64 v[32:33], v[32:33], s[0:1]
	v_cvt_i32_f64_e32 v26, v[32:33]
	v_lshlrev_b16_e32 v26, 4, v26
	v_or_b32_e32 v26, v26, v14
	v_sub_f32_e32 v14, v15, v37
	v_fma_f32 v14, v14, v34, 0.5
	v_cvt_i32_f32_e32 v14, v14
	v_sub_f32_e32 v15, v27, v37
	v_fma_f32 v15, v15, v34, 0.5
	v_cvt_i32_f32_e32 v27, v15
	v_cvt_f64_i32_e32 v[14:15], v14
	v_min_f64 v[14:15], v[14:15], s[0:1]
	v_cvt_i32_f64_e32 v32, v[14:15]
	v_cvt_f64_i32_e32 v[14:15], v27
	v_min_f64 v[14:15], v[14:15], s[0:1]
	v_cvt_i32_f64_e32 v27, v[14:15]
	v_sub_f32_e32 v14, v16, v37
	v_fma_f32 v14, v14, v34, 0.5
	v_cvt_i32_f32_e32 v14, v14
	v_sub_f32_e32 v15, v28, v37
	v_fma_f32 v15, v15, v34, 0.5
	v_cvt_i32_f32_e32 v16, v15
	v_cvt_f64_i32_e32 v[14:15], v14
	v_min_f64 v[14:15], v[14:15], s[0:1]
	v_cvt_i32_f64_e32 v28, v[14:15]
	v_cvt_f64_i32_e32 v[14:15], v16
	v_min_f64 v[14:15], v[14:15], s[0:1]
	v_cvt_i32_f64_e32 v14, v[14:15]
	v_lshlrev_b16_e32 v14, 4, v14
	v_or_b32_e32 v16, v14, v28
	v_sub_f32_e32 v14, v17, v37
	v_fma_f32 v14, v14, v34, 0.5
	v_cvt_i32_f32_e32 v14, v14
	v_sub_f32_e32 v15, v29, v37
	v_fma_f32 v15, v15, v34, 0.5
	v_cvt_i32_f32_e32 v17, v15
	v_cvt_f64_i32_e32 v[14:15], v14
	v_min_f64 v[14:15], v[14:15], s[0:1]
	v_cvt_i32_f64_e32 v28, v[14:15]
	v_cvt_f64_i32_e32 v[14:15], v17
	v_sub_f32_e32 v6, v6, v37
	v_min_f64 v[14:15], v[14:15], s[0:1]
	v_fma_f32 v6, v6, v34, 0.5
	v_cvt_i32_f64_e32 v17, v[14:15]
	v_cvt_i32_f32_e32 v6, v6
	v_sub_f32_e32 v14, v18, v37
	v_fma_f32 v14, v14, v34, 0.5
	v_cvt_i32_f32_e32 v18, v14
	v_cvt_f64_i32_e32 v[14:15], v6
	v_min_f64 v[14:15], v[14:15], s[0:1]
	v_cvt_i32_f64_e32 v6, v[14:15]
	v_cvt_f64_i32_e32 v[14:15], v18
	v_min_f64 v[14:15], v[14:15], s[0:1]
	v_cvt_i32_f64_e32 v14, v[14:15]
	v_lshlrev_b16_e32 v14, 4, v14
	v_or_b32_e32 v14, v14, v6
	v_sub_f32_e32 v6, v7, v37
	v_fma_f32 v6, v6, v34, 0.5
	v_cvt_i32_f32_e32 v6, v6
	v_sub_f32_e32 v7, v19, v37
	v_fma_f32 v7, v7, v34, 0.5
	v_cvt_i32_f32_e32 v15, v7
	v_cvt_f64_i32_e32 v[6:7], v6
	v_min_f64 v[6:7], v[6:7], s[0:1]
	v_cvt_i32_f64_e32 v18, v[6:7]
	v_cvt_f64_i32_e32 v[6:7], v15
	v_min_f64 v[6:7], v[6:7], s[0:1]
	v_cvt_i32_f64_e32 v15, v[6:7]
	v_sub_f32_e32 v6, v8, v37
	v_fma_f32 v6, v6, v34, 0.5
	v_cvt_i32_f32_e32 v6, v6
	v_sub_f32_e32 v7, v20, v37
	v_fma_f32 v7, v7, v34, 0.5
	v_cvt_i32_f32_e32 v8, v7
	v_cvt_f64_i32_e32 v[6:7], v6
	v_min_f64 v[6:7], v[6:7], s[0:1]
	v_cvt_i32_f64_e32 v19, v[6:7]
	v_cvt_f64_i32_e32 v[6:7], v8
	v_min_f64 v[6:7], v[6:7], s[0:1]
	v_cvt_i32_f64_e32 v6, v[6:7]
	v_lshlrev_b16_e32 v6, 4, v6
	v_or_b32_e32 v8, v6, v19
	v_sub_f32_e32 v6, v9, v37
	v_fma_f32 v6, v6, v34, 0.5
	v_cvt_i32_f32_e32 v6, v6
	v_sub_f32_e32 v7, v21, v37
	v_fma_f32 v7, v7, v34, 0.5
	v_cvt_i32_f32_e32 v9, v7
	v_cvt_f64_i32_e32 v[6:7], v6
	v_min_f64 v[6:7], v[6:7], s[0:1]
	v_cvt_i32_f64_e32 v19, v[6:7]
	v_cvt_f64_i32_e32 v[6:7], v9
	v_sub_f32_e32 v2, v2, v37
	v_min_f64 v[6:7], v[6:7], s[0:1]
	v_fma_f32 v2, v2, v34, 0.5
	v_cvt_i32_f64_e32 v9, v[6:7]
	v_cvt_i32_f32_e32 v2, v2
	v_sub_f32_e32 v6, v10, v37
	v_fma_f32 v6, v6, v34, 0.5
	v_cvt_i32_f32_e32 v10, v6
	v_cvt_f64_i32_e32 v[6:7], v2
	v_min_f64 v[6:7], v[6:7], s[0:1]
	v_cvt_i32_f64_e32 v2, v[6:7]
	v_cvt_f64_i32_e32 v[6:7], v10
	v_min_f64 v[6:7], v[6:7], s[0:1]
	v_cvt_i32_f64_e32 v6, v[6:7]
	v_lshlrev_b16_e32 v6, 4, v6
	v_or_b32_e32 v6, v6, v2
	v_sub_f32_e32 v2, v3, v37
	v_fma_f32 v2, v2, v34, 0.5
	v_cvt_i32_f32_e32 v2, v2
	v_sub_f32_e32 v3, v11, v37
	v_fma_f32 v3, v3, v34, 0.5
	v_cvt_i32_f32_e32 v7, v3
	v_cvt_f64_i32_e32 v[2:3], v2
	v_min_f64 v[2:3], v[2:3], s[0:1]
	v_cvt_i32_f64_e32 v10, v[2:3]
	v_cvt_f64_i32_e32 v[2:3], v7
	v_min_f64 v[2:3], v[2:3], s[0:1]
	v_cvt_i32_f64_e32 v7, v[2:3]
	v_sub_f32_e32 v2, v4, v37
	v_fma_f32 v2, v2, v34, 0.5
	v_cvt_i32_f32_e32 v2, v2
	v_sub_f32_e32 v3, v12, v37
	v_fma_f32 v3, v3, v34, 0.5
	v_cvt_i32_f32_e32 v4, v3
	v_cvt_f64_i32_e32 v[2:3], v2
	v_min_f64 v[2:3], v[2:3], s[0:1]
	v_cvt_i32_f64_e32 v11, v[2:3]
	v_cvt_f64_i32_e32 v[2:3], v4
	v_min_f64 v[2:3], v[2:3], s[0:1]
	v_cvt_i32_f64_e32 v2, v[2:3]
	v_lshlrev_b16_e32 v2, 4, v2
	v_or_b32_e32 v4, v2, v11
	v_sub_f32_e32 v2, v5, v37
	v_fma_f32 v2, v2, v34, 0.5
	v_cvt_i32_f32_e32 v2, v2
	v_sub_f32_e32 v3, v13, v37
	v_fma_f32 v3, v3, v34, 0.5
	v_cvt_i32_f32_e32 v5, v3
	v_cvt_f64_i32_e32 v[2:3], v2
	v_min_f64 v[2:3], v[2:3], s[0:1]
	v_cvt_i32_f64_e32 v11, v[2:3]
	v_cvt_f64_i32_e32 v[2:3], v5
	v_min_f64 v[2:3], v[2:3], s[0:1]
	v_cvt_i32_f64_e32 v2, v[2:3]
	v_lshlrev_b16_e32 v3, 8, v10
	v_lshlrev_b16_e32 v5, 12, v7
	v_or_b32_e32 v3, v5, v3
	v_lshlrev_b16_e32 v5, 8, v11
	v_lshlrev_b16_e32 v2, 12, v2
	s_movk_i32 s0, 0xff
	v_or_b32_e32 v2, v2, v5
	v_bitop3_b16 v2, v4, v2, s0 bitop3:0xec
	v_bitop3_b16 v3, v6, v3, s0 bitop3:0xec
	v_lshlrev_b32_e32 v2, 16, v2
	v_or_b32_sdwa v5, v3, v2 dst_sel:DWORD dst_unused:UNUSED_PAD src0_sel:WORD_0 src1_sel:DWORD
	v_lshlrev_b16_e32 v2, 8, v18
	v_lshlrev_b16_e32 v3, 12, v15
	v_or_b32_e32 v2, v3, v2
	v_lshlrev_b16_e32 v3, 8, v19
	v_lshlrev_b16_e32 v4, 12, v9
	v_or_b32_e32 v3, v4, v3
	v_bitop3_b16 v3, v8, v3, s0 bitop3:0xec
	v_bitop3_b16 v2, v14, v2, s0 bitop3:0xec
	v_lshlrev_b32_e32 v3, 16, v3
	v_or_b32_sdwa v4, v2, v3 dst_sel:DWORD dst_unused:UNUSED_PAD src0_sel:WORD_0 src1_sel:DWORD
	v_lshlrev_b16_e32 v2, 8, v32
	v_lshlrev_b16_e32 v3, 12, v27
	v_or_b32_e32 v2, v3, v2
	v_lshlrev_b16_e32 v3, 8, v28
	v_lshlrev_b16_e32 v6, 12, v17
	;; [unrolled: 10-line block ×3, first 2 shown]
	v_or_b32_e32 v6, v7, v6
	v_bitop3_b16 v6, v24, v6, s0 bitop3:0xec
	v_bitop3_b16 v2, v22, v2, s0 bitop3:0xec
	v_lshlrev_b32_e32 v6, 16, v6
	v_or_b32_sdwa v2, v2, v6 dst_sel:DWORD dst_unused:UNUSED_PAD src0_sel:WORD_0 src1_sel:DWORD
	global_store_dwordx4 v[0:1], v[2:5], off offset:4
.LBB4_2:
	s_endpgm
	.section	.rodata,"a",@progbits
	.p2align	6, 0x0
	.amdhsa_kernel _ZL16k_set_rows_quantIl10block_q4_1Li32ETnPFvPKfPT0_EXadL_ZL23quantize_f32_q4_1_blockS2_PS0_EEEvS2_PKT_S4_llllllllllllll15HIP_vector_typeIjLj3EESC_SC_SC_SC_
		.amdhsa_group_segment_fixed_size 0
		.amdhsa_private_segment_fixed_size 0
		.amdhsa_kernarg_size 456
		.amdhsa_user_sgpr_count 2
		.amdhsa_user_sgpr_dispatch_ptr 0
		.amdhsa_user_sgpr_queue_ptr 0
		.amdhsa_user_sgpr_kernarg_segment_ptr 1
		.amdhsa_user_sgpr_dispatch_id 0
		.amdhsa_user_sgpr_kernarg_preload_length 0
		.amdhsa_user_sgpr_kernarg_preload_offset 0
		.amdhsa_user_sgpr_private_segment_size 0
		.amdhsa_uses_dynamic_stack 0
		.amdhsa_enable_private_segment 0
		.amdhsa_system_sgpr_workgroup_id_x 1
		.amdhsa_system_sgpr_workgroup_id_y 0
		.amdhsa_system_sgpr_workgroup_id_z 0
		.amdhsa_system_sgpr_workgroup_info 0
		.amdhsa_system_vgpr_workitem_id 0
		.amdhsa_next_free_vgpr 43
		.amdhsa_next_free_sgpr 40
		.amdhsa_accum_offset 44
		.amdhsa_reserve_vcc 1
		.amdhsa_float_round_mode_32 0
		.amdhsa_float_round_mode_16_64 0
		.amdhsa_float_denorm_mode_32 3
		.amdhsa_float_denorm_mode_16_64 3
		.amdhsa_dx10_clamp 1
		.amdhsa_ieee_mode 1
		.amdhsa_fp16_overflow 0
		.amdhsa_tg_split 0
		.amdhsa_exception_fp_ieee_invalid_op 0
		.amdhsa_exception_fp_denorm_src 0
		.amdhsa_exception_fp_ieee_div_zero 0
		.amdhsa_exception_fp_ieee_overflow 0
		.amdhsa_exception_fp_ieee_underflow 0
		.amdhsa_exception_fp_ieee_inexact 0
		.amdhsa_exception_int_div_zero 0
	.end_amdhsa_kernel
	.section	.text._ZL16k_set_rows_quantIl10block_q4_1Li32ETnPFvPKfPT0_EXadL_ZL23quantize_f32_q4_1_blockS2_PS0_EEEvS2_PKT_S4_llllllllllllll15HIP_vector_typeIjLj3EESC_SC_SC_SC_,"axG",@progbits,_ZL16k_set_rows_quantIl10block_q4_1Li32ETnPFvPKfPT0_EXadL_ZL23quantize_f32_q4_1_blockS2_PS0_EEEvS2_PKT_S4_llllllllllllll15HIP_vector_typeIjLj3EESC_SC_SC_SC_,comdat
.Lfunc_end4:
	.size	_ZL16k_set_rows_quantIl10block_q4_1Li32ETnPFvPKfPT0_EXadL_ZL23quantize_f32_q4_1_blockS2_PS0_EEEvS2_PKT_S4_llllllllllllll15HIP_vector_typeIjLj3EESC_SC_SC_SC_, .Lfunc_end4-_ZL16k_set_rows_quantIl10block_q4_1Li32ETnPFvPKfPT0_EXadL_ZL23quantize_f32_q4_1_blockS2_PS0_EEEvS2_PKT_S4_llllllllllllll15HIP_vector_typeIjLj3EESC_SC_SC_SC_
                                        ; -- End function
	.set _ZL16k_set_rows_quantIl10block_q4_1Li32ETnPFvPKfPT0_EXadL_ZL23quantize_f32_q4_1_blockS2_PS0_EEEvS2_PKT_S4_llllllllllllll15HIP_vector_typeIjLj3EESC_SC_SC_SC_.num_vgpr, 43
	.set _ZL16k_set_rows_quantIl10block_q4_1Li32ETnPFvPKfPT0_EXadL_ZL23quantize_f32_q4_1_blockS2_PS0_EEEvS2_PKT_S4_llllllllllllll15HIP_vector_typeIjLj3EESC_SC_SC_SC_.num_agpr, 0
	.set _ZL16k_set_rows_quantIl10block_q4_1Li32ETnPFvPKfPT0_EXadL_ZL23quantize_f32_q4_1_blockS2_PS0_EEEvS2_PKT_S4_llllllllllllll15HIP_vector_typeIjLj3EESC_SC_SC_SC_.numbered_sgpr, 40
	.set _ZL16k_set_rows_quantIl10block_q4_1Li32ETnPFvPKfPT0_EXadL_ZL23quantize_f32_q4_1_blockS2_PS0_EEEvS2_PKT_S4_llllllllllllll15HIP_vector_typeIjLj3EESC_SC_SC_SC_.num_named_barrier, 0
	.set _ZL16k_set_rows_quantIl10block_q4_1Li32ETnPFvPKfPT0_EXadL_ZL23quantize_f32_q4_1_blockS2_PS0_EEEvS2_PKT_S4_llllllllllllll15HIP_vector_typeIjLj3EESC_SC_SC_SC_.private_seg_size, 0
	.set _ZL16k_set_rows_quantIl10block_q4_1Li32ETnPFvPKfPT0_EXadL_ZL23quantize_f32_q4_1_blockS2_PS0_EEEvS2_PKT_S4_llllllllllllll15HIP_vector_typeIjLj3EESC_SC_SC_SC_.uses_vcc, 1
	.set _ZL16k_set_rows_quantIl10block_q4_1Li32ETnPFvPKfPT0_EXadL_ZL23quantize_f32_q4_1_blockS2_PS0_EEEvS2_PKT_S4_llllllllllllll15HIP_vector_typeIjLj3EESC_SC_SC_SC_.uses_flat_scratch, 0
	.set _ZL16k_set_rows_quantIl10block_q4_1Li32ETnPFvPKfPT0_EXadL_ZL23quantize_f32_q4_1_blockS2_PS0_EEEvS2_PKT_S4_llllllllllllll15HIP_vector_typeIjLj3EESC_SC_SC_SC_.has_dyn_sized_stack, 0
	.set _ZL16k_set_rows_quantIl10block_q4_1Li32ETnPFvPKfPT0_EXadL_ZL23quantize_f32_q4_1_blockS2_PS0_EEEvS2_PKT_S4_llllllllllllll15HIP_vector_typeIjLj3EESC_SC_SC_SC_.has_recursion, 0
	.set _ZL16k_set_rows_quantIl10block_q4_1Li32ETnPFvPKfPT0_EXadL_ZL23quantize_f32_q4_1_blockS2_PS0_EEEvS2_PKT_S4_llllllllllllll15HIP_vector_typeIjLj3EESC_SC_SC_SC_.has_indirect_call, 0
	.section	.AMDGPU.csdata,"",@progbits
; Kernel info:
; codeLenInByte = 3076
; TotalNumSgprs: 46
; NumVgprs: 43
; NumAgprs: 0
; TotalNumVgprs: 43
; ScratchSize: 0
; MemoryBound: 0
; FloatMode: 240
; IeeeMode: 1
; LDSByteSize: 0 bytes/workgroup (compile time only)
; SGPRBlocks: 5
; VGPRBlocks: 5
; NumSGPRsForWavesPerEU: 46
; NumVGPRsForWavesPerEU: 43
; AccumOffset: 44
; Occupancy: 8
; WaveLimiterHint : 1
; COMPUTE_PGM_RSRC2:SCRATCH_EN: 0
; COMPUTE_PGM_RSRC2:USER_SGPR: 2
; COMPUTE_PGM_RSRC2:TRAP_HANDLER: 0
; COMPUTE_PGM_RSRC2:TGID_X_EN: 1
; COMPUTE_PGM_RSRC2:TGID_Y_EN: 0
; COMPUTE_PGM_RSRC2:TGID_Z_EN: 0
; COMPUTE_PGM_RSRC2:TIDIG_COMP_CNT: 0
; COMPUTE_PGM_RSRC3_GFX90A:ACCUM_OFFSET: 10
; COMPUTE_PGM_RSRC3_GFX90A:TG_SPLIT: 0
	.section	.text._ZL16k_set_rows_quantIl10block_q5_0Li32ETnPFvPKfPT0_EXadL_ZL23quantize_f32_q5_0_blockS2_PS0_EEEvS2_PKT_S4_llllllllllllll15HIP_vector_typeIjLj3EESC_SC_SC_SC_,"axG",@progbits,_ZL16k_set_rows_quantIl10block_q5_0Li32ETnPFvPKfPT0_EXadL_ZL23quantize_f32_q5_0_blockS2_PS0_EEEvS2_PKT_S4_llllllllllllll15HIP_vector_typeIjLj3EESC_SC_SC_SC_,comdat
	.globl	_ZL16k_set_rows_quantIl10block_q5_0Li32ETnPFvPKfPT0_EXadL_ZL23quantize_f32_q5_0_blockS2_PS0_EEEvS2_PKT_S4_llllllllllllll15HIP_vector_typeIjLj3EESC_SC_SC_SC_ ; -- Begin function _ZL16k_set_rows_quantIl10block_q5_0Li32ETnPFvPKfPT0_EXadL_ZL23quantize_f32_q5_0_blockS2_PS0_EEEvS2_PKT_S4_llllllllllllll15HIP_vector_typeIjLj3EESC_SC_SC_SC_
	.p2align	8
	.type	_ZL16k_set_rows_quantIl10block_q5_0Li32ETnPFvPKfPT0_EXadL_ZL23quantize_f32_q5_0_blockS2_PS0_EEEvS2_PKT_S4_llllllllllllll15HIP_vector_typeIjLj3EESC_SC_SC_SC_,@function
_ZL16k_set_rows_quantIl10block_q5_0Li32ETnPFvPKfPT0_EXadL_ZL23quantize_f32_q5_0_blockS2_PS0_EEEvS2_PKT_S4_llllllllllllll15HIP_vector_typeIjLj3EESC_SC_SC_SC_: ; @_ZL16k_set_rows_quantIl10block_q5_0Li32ETnPFvPKfPT0_EXadL_ZL23quantize_f32_q5_0_blockS2_PS0_EEEvS2_PKT_S4_llllllllllllll15HIP_vector_typeIjLj3EESC_SC_SC_SC_
; %bb.0:
	s_load_dword s3, s[0:1], 0xd4
	s_load_dwordx2 s[4:5], s[0:1], 0x18
	v_mov_b32_e32 v1, 0
	v_mov_b32_e32 v2, s2
	s_waitcnt lgkmcnt(0)
	s_and_b32 s3, s3, 0xffff
	v_mad_u64_u32 v[2:3], s[2:3], s3, v2, v[0:1]
	v_cmp_gt_i64_e32 vcc, s[4:5], v[2:3]
	s_and_saveexec_b64 s[2:3], vcc
	s_cbranch_execz .LBB5_4
; %bb.1:
	s_load_dwordx4 s[28:31], s[0:1], 0x0
	s_load_dwordx2 s[2:3], s[0:1], 0x10
	s_load_dwordx16 s[4:19], s[0:1], 0x40
	s_load_dwordx8 s[20:27], s[0:1], 0x88
	s_load_dword s33, s[0:1], 0xc0
	s_load_dwordx2 s[34:35], s[0:1], 0xb8
	s_load_dwordx4 s[36:39], s[0:1], 0xa8
	v_lshlrev_b32_e32 v8, 5, v2
	s_waitcnt lgkmcnt(0)
	v_mul_hi_u32 v0, s20, v8
	v_add_u32_e32 v0, v8, v0
	v_lshrrev_b32_e32 v9, s21, v0
	v_mul_hi_u32 v0, v9, s23
	v_add_u32_e32 v0, v9, v0
	v_lshrrev_b32_e32 v0, s24, v0
	v_mul_lo_u32 v2, v0, s25
	v_sub_u32_e32 v10, v9, v2
	v_mul_hi_u32 v2, v0, s26
	v_add_u32_e32 v2, v0, v2
	v_lshrrev_b32_e32 v40, s27, v2
	v_mul_lo_u32 v2, v40, s36
	v_sub_u32_e32 v42, v0, v2
	;; [unrolled: 5-line block ×3, first 2 shown]
	v_mul_hi_u32 v0, v42, s37
	v_add_u32_e32 v0, v42, v0
	v_lshrrev_b32_e32 v0, s38, v0
	v_mul_lo_u32 v0, v0, s39
	v_mad_u64_u32 v[2:3], s[20:21], s10, v10, 0
	v_sub_u32_e32 v6, v42, v0
	v_mov_b32_e32 v0, v3
	v_mad_u64_u32 v[4:5], s[10:11], s11, v10, v[0:1]
	v_mov_b32_e32 v3, v4
	v_mad_u64_u32 v[4:5], s[10:11], s12, v6, 0
	;; [unrolled: 2-line block ×3, first 2 shown]
	v_lshl_add_u64 v[2:3], v[2:3], 3, s[30:31]
	v_mov_b32_e32 v5, v6
	v_lshl_add_u64 v[2:3], v[4:5], 3, v[2:3]
	v_mad_u64_u32 v[4:5], s[10:11], s14, v11, 0
	v_mov_b32_e32 v0, v5
	v_mad_u64_u32 v[6:7], s[10:11], s15, v11, v[0:1]
	v_mov_b32_e32 v5, v6
	v_lshl_add_u64 v[2:3], v[4:5], 3, v[2:3]
	global_load_dwordx2 v[16:17], v[2:3], off
	v_mad_u64_u32 v[2:3], s[10:11], s4, v10, 0
	v_mov_b32_e32 v4, v3
	v_mad_u64_u32 v[4:5], s[4:5], s5, v10, v[4:5]
	v_mov_b32_e32 v3, v4
	;; [unrolled: 2-line block ×4, first 2 shown]
	v_lshlrev_b64 v[10:11], 2, v[4:5]
	v_mad_u64_u32 v[4:5], s[4:5], s8, v40, 0
	v_mul_lo_u32 v0, v9, s22
	v_mov_b32_e32 v6, v5
	v_sub_u32_e32 v0, v8, v0
	v_lshlrev_b64 v[8:9], 2, v[2:3]
	v_mad_u64_u32 v[6:7], s[4:5], s9, v40, v[6:7]
	v_lshl_add_u64 v[2:3], s[28:29], 0, v[8:9]
	v_mov_b32_e32 v5, v6
	v_lshl_add_u64 v[2:3], v[2:3], 0, v[10:11]
	v_lshlrev_b64 v[12:13], 2, v[4:5]
	v_lshl_add_u64 v[2:3], v[2:3], 0, v[12:13]
	v_lshlrev_b64 v[14:15], 2, v[0:1]
	v_lshl_add_u64 v[6:7], v[2:3], 0, v[14:15]
	global_load_dwordx4 v[18:21], v[6:7], off
	global_load_dwordx4 v[22:25], v[6:7], off offset:16
	global_load_dwordx4 v[26:29], v[6:7], off offset:32
	;; [unrolled: 1-line block ×3, first 2 shown]
	s_load_dwordx2 s[4:5], s[0:1], 0x80
	global_load_dwordx4 v[30:33], v[6:7], off offset:80
	global_load_dwordx4 v[34:37], v[6:7], off offset:64
	v_mov_b32_e32 v39, v1
	s_mov_b32 s0, 0xba2e8ba3
	v_mov_b32_e32 v41, v1
	s_mov_b32 s8, 0x2e8ba2e8
	v_mov_b32_e32 v43, v1
	v_lshrrev_b32_e32 v0, 5, v0
	v_lshl_add_u64 v[10:11], v[12:13], 0, v[10:11]
	v_lshl_add_u64 v[8:9], v[10:11], 0, v[8:9]
	;; [unrolled: 1-line block ×4, first 2 shown]
	s_mov_b32 s1, 0
	v_lshl_add_u64 v[8:9], v[8:9], 0, 64
	v_mov_b32_e32 v11, 0
	v_mov_b32_e32 v10, 0
	s_waitcnt vmcnt(6)
	v_mul_lo_u32 v38, v17, s16
	v_mul_lo_u32 v44, v16, s17
	v_mad_u64_u32 v[16:17], s[6:7], v16, s16, 0
	v_add3_u32 v17, v17, v44, v38
	s_waitcnt lgkmcnt(0)
	v_mad_u64_u32 v[16:17], s[6:7], s4, v40, v[16:17]
	v_mov_b32_e32 v38, v17
	v_mad_u64_u32 v[44:45], s[4:5], s5, v40, v[38:39]
	v_mov_b32_e32 v17, v44
	v_mad_u64_u32 v[16:17], s[4:5], s18, v42, v[16:17]
	v_mov_b32_e32 v40, v17
	v_mul_hi_u32 v38, v16, s0
	v_mad_u64_u32 v[44:45], s[4:5], s19, v42, v[40:41]
	v_mad_u64_u32 v[38:39], s[4:5], v44, s0, v[38:39]
	v_mov_b32_e32 v40, v39
	v_mov_b32_e32 v39, v1
	v_mad_u64_u32 v[16:17], s[4:5], v16, s8, v[38:39]
	v_mov_b32_e32 v42, v17
	v_lshl_add_u64 v[16:17], v[40:41], 0, v[42:43]
	v_mad_u64_u32 v[16:17], s[4:5], v44, s8, v[16:17]
	global_load_dwordx4 v[38:41], v[6:7], off offset:112
	global_load_dwordx4 v[42:45], v[6:7], off offset:96
	v_alignbit_b32 v48, v17, v16, 2
	v_lshrrev_b32_e32 v16, 2, v17
	s_waitcnt vmcnt(7)
	v_cmp_lg_f32_e32 vcc, 0, v18
	v_mul_lo_u32 v17, v16, 22
	v_mad_u64_u32 v[46:47], s[4:5], v48, 22, s[2:3]
	v_cndmask_b32_e32 v16, 0, v18, vcc
	v_cndmask_b32_e64 v18, 0, |v18|, vcc
	v_cmp_lt_f32_e64 vcc, v18, |v19|
	v_add_u32_e32 v47, v17, v47
	s_mov_b32 s0, 0xbd800000
	v_cndmask_b32_e64 v18, v18, |v19|, vcc
	v_cndmask_b32_e32 v16, v16, v19, vcc
	v_cmp_lt_f32_e64 vcc, v18, |v20|
	s_movk_i32 s6, 0xff
	s_mov_b32 s7, 0xff000000
	v_cndmask_b32_e64 v18, v18, |v20|, vcc
	v_cndmask_b32_e32 v16, v16, v20, vcc
	v_cmp_lt_f32_e64 vcc, v18, |v21|
	s_nop 1
	v_cndmask_b32_e64 v18, v18, |v21|, vcc
	v_cndmask_b32_e32 v16, v16, v21, vcc
	s_waitcnt vmcnt(6)
	v_cmp_lt_f32_e64 vcc, v18, |v22|
	s_nop 1
	v_cndmask_b32_e64 v18, v18, |v22|, vcc
	v_cndmask_b32_e32 v16, v16, v22, vcc
	v_cmp_lt_f32_e64 vcc, v18, |v23|
	s_nop 1
	v_cndmask_b32_e64 v18, v18, |v23|, vcc
	v_cndmask_b32_e32 v16, v16, v23, vcc
	;; [unrolled: 4-line block ×4, first 2 shown]
	s_waitcnt vmcnt(5)
	v_cmp_lt_f32_e64 vcc, v18, |v26|
	s_nop 1
	v_cndmask_b32_e64 v18, v18, |v26|, vcc
	v_cndmask_b32_e32 v16, v16, v26, vcc
	v_cmp_lt_f32_e64 vcc, v18, |v27|
	s_nop 1
	v_cndmask_b32_e64 v18, v18, |v27|, vcc
	v_cndmask_b32_e32 v16, v16, v27, vcc
	;; [unrolled: 4-line block ×4, first 2 shown]
	s_waitcnt vmcnt(4)
	v_cmp_lt_f32_e64 vcc, v18, |v2|
	s_nop 1
	v_cndmask_b32_e32 v16, v16, v2, vcc
	v_cndmask_b32_e64 v2, v18, |v2|, vcc
	v_cmp_lt_f32_e64 vcc, v2, |v3|
	s_nop 1
	v_cndmask_b32_e64 v2, v2, |v3|, vcc
	v_cndmask_b32_e32 v16, v16, v3, vcc
	v_cmp_lt_f32_e64 vcc, v2, |v4|
	s_nop 1
	v_cndmask_b32_e64 v2, v2, |v4|, vcc
	v_cndmask_b32_e32 v3, v16, v4, vcc
	;; [unrolled: 4-line block ×3, first 2 shown]
	s_waitcnt vmcnt(2)
	v_cmp_lt_f32_e64 vcc, v2, |v34|
	s_nop 1
	v_cndmask_b32_e64 v2, v2, |v34|, vcc
	v_cndmask_b32_e32 v3, v3, v34, vcc
	v_cmp_lt_f32_e64 vcc, v2, |v35|
	s_nop 1
	v_cndmask_b32_e64 v2, v2, |v35|, vcc
	v_cndmask_b32_e32 v3, v3, v35, vcc
	;; [unrolled: 4-line block ×8, first 2 shown]
	s_waitcnt vmcnt(0)
	v_cmp_lt_f32_e64 vcc, v2, |v42|
	s_nop 1
	v_cndmask_b32_e64 v2, v2, |v42|, vcc
	v_cndmask_b32_e32 v3, v3, v42, vcc
	v_cmp_lt_f32_e64 vcc, v2, |v43|
	s_nop 1
	v_cndmask_b32_e64 v2, v2, |v43|, vcc
	v_cndmask_b32_e32 v3, v3, v43, vcc
	;; [unrolled: 4-line block ×7, first 2 shown]
	v_cmp_lt_f32_e64 vcc, v2, |v41|
	s_nop 1
	v_cndmask_b32_e32 v4, v3, v41, vcc
	v_mul_f32_e32 v5, 0xbd800000, v4
	v_div_scale_f32 v16, s[4:5], v5, v5, 1.0
	v_rcp_f32_e32 v18, v16
	v_mad_u64_u32 v[2:3], s[4:5], v0, 22, v[46:47]
	v_mul_lo_u32 v0, v0, 22
	v_fma_f32 v19, -v16, v18, 1.0
	v_fmac_f32_e32 v18, v19, v18
	v_div_scale_f32 v19, vcc, 1.0, v5, 1.0
	v_mul_f32_e32 v20, v19, v18
	v_fma_f32 v21, -v16, v20, v19
	v_fmac_f32_e32 v20, v21, v18
	v_fma_f32 v16, -v16, v20, v19
	v_div_fmas_f32 v16, v16, v18, v20
	v_fma_mixlo_f16 v4, v4, s0, 0
	v_div_fixup_f32 v16, v16, v5, 1.0
	v_cmp_neq_f32_e32 vcc, 0, v5
	global_store_short v[2:3], v4, off
	v_mad_u64_u32 v[4:5], s[4:5], v48, 22, v[0:1]
	v_add_u32_e32 v5, v17, v5
                                        ; implicit-def: $vgpr0
	s_mov_b32 s4, 0
	v_cndmask_b32_e32 v16, 0, v16, vcc
	v_lshl_add_u64 v[4:5], s[2:3], 0, v[4:5]
	s_mov_b64 s[2:3], 0
	s_mov_b32 s5, 0x403f0000
	v_mov_b32_e32 v0, 15
.LBB5_2:                                ; =>This Inner Loop Header: Depth=1
	global_load_dwordx2 v[12:13], v[8:9], off offset:-64
	global_load_dword v17, v[8:9], off
	s_or_b32 s0, s2, 17
	v_lshl_add_u64 v[14:15], s[0:1], 2, v[6:7]
	global_load_dword v18, v[14:15], off
	v_and_b32_e32 v11, 0xff0000, v11
	v_and_b32_e32 v1, 0xffff, v1
	v_or3_b32 v1, v11, v10, v1
	s_add_i32 s8, s2, 16
	s_add_i32 s9, s2, 1
	v_lshl_add_u64 v[14:15], v[4:5], 0, s[2:3]
	v_lshl_add_u64 v[8:9], v[8:9], 0, 8
	s_waitcnt vmcnt(2)
	v_fmaak_f32 v10, v16, v12, 0x41840000
	s_waitcnt vmcnt(1)
	v_fmaak_f32 v11, v16, v17, 0x41840000
	v_fmaak_f32 v12, v16, v13, 0x41840000
	v_cvt_i32_f32_e32 v10, v10
	v_cvt_i32_f32_e32 v13, v11
	;; [unrolled: 1-line block ×3, first 2 shown]
	s_waitcnt vmcnt(0)
	v_fmaak_f32 v11, v16, v18, 0x41840000
	v_cvt_i32_f32_e32 v20, v11
	v_cvt_f64_i32_e32 v[10:11], v10
	v_cvt_f64_i32_e32 v[12:13], v13
	v_cvt_f64_i32_e32 v[18:19], v17
	v_min_f64 v[10:11], v[10:11], s[4:5]
	v_min_f64 v[12:13], v[12:13], s[4:5]
	v_min_f64 v[18:19], v[18:19], s[4:5]
	v_cvt_i32_f64_e32 v17, v[10:11]
	v_cvt_i32_f64_e32 v12, v[12:13]
	v_cvt_f64_i32_e32 v[10:11], v20
	v_cvt_i32_f64_e32 v13, v[18:19]
	v_lshlrev_b16_e32 v18, 4, v12
	v_lshrrev_b16_e32 v19, 4, v17
	v_lshrrev_b16_e32 v12, 4, v12
	v_min_f64 v[10:11], v[10:11], s[4:5]
	v_and_b32_sdwa v20, v13, v0 dst_sel:BYTE_1 dst_unused:UNUSED_PAD src0_sel:DWORD src1_sel:DWORD
	v_lshrrev_b16_e32 v13, 4, v13
	v_bitop3_b16 v17, v18, v17, 15 bitop3:0xf8
	v_and_b32_e32 v18, 1, v19
	v_and_b32_e32 v12, 1, v12
	v_cvt_i32_f64_e32 v10, v[10:11]
	v_and_b32_e32 v11, 1, v13
	v_lshlrev_b32_sdwa v13, s2, v18 dst_sel:DWORD dst_unused:UNUSED_PAD src0_sel:DWORD src1_sel:WORD_0
	v_lshlrev_b32_sdwa v12, s8, v12 dst_sel:DWORD dst_unused:UNUSED_PAD src0_sel:DWORD src1_sel:WORD_0
	v_lshlrev_b16_e32 v18, 12, v10
	v_lshrrev_b16_e32 v10, 4, v10
	v_and_b32_e32 v11, 0xffff, v11
	s_add_u32 s2, s2, 2
	v_or3_b32 v1, v13, v1, v12
	v_and_b32_e32 v10, 1, v10
	v_or_b32_e32 v18, v18, v20
	s_addc_u32 s3, s3, 0
	v_lshl_or_b32 v1, v11, s9, v1
	v_lshlrev_b32_sdwa v10, s0, v10 dst_sel:DWORD dst_unused:UNUSED_PAD src0_sel:DWORD src1_sel:WORD_0
	v_bitop3_b16 v12, v17, v18, s6 bitop3:0xec
	s_cmp_lg_u32 s2, 16
	v_or_b32_e32 v11, v1, v10
	v_bitop3_b32 v10, v1, s7, v10 bitop3:0xc8
	global_store_short v[14:15], v12, off offset:6
	s_cbranch_scc1 .LBB5_2
; %bb.3:
	s_mov_b32 s0, 0xffff
	v_bfi_b32 v0, s0, v1, v11
	global_store_dword v[2:3], v0, off offset:2
.LBB5_4:
	s_endpgm
	.section	.rodata,"a",@progbits
	.p2align	6, 0x0
	.amdhsa_kernel _ZL16k_set_rows_quantIl10block_q5_0Li32ETnPFvPKfPT0_EXadL_ZL23quantize_f32_q5_0_blockS2_PS0_EEEvS2_PKT_S4_llllllllllllll15HIP_vector_typeIjLj3EESC_SC_SC_SC_
		.amdhsa_group_segment_fixed_size 0
		.amdhsa_private_segment_fixed_size 0
		.amdhsa_kernarg_size 456
		.amdhsa_user_sgpr_count 2
		.amdhsa_user_sgpr_dispatch_ptr 0
		.amdhsa_user_sgpr_queue_ptr 0
		.amdhsa_user_sgpr_kernarg_segment_ptr 1
		.amdhsa_user_sgpr_dispatch_id 0
		.amdhsa_user_sgpr_kernarg_preload_length 0
		.amdhsa_user_sgpr_kernarg_preload_offset 0
		.amdhsa_user_sgpr_private_segment_size 0
		.amdhsa_uses_dynamic_stack 0
		.amdhsa_enable_private_segment 0
		.amdhsa_system_sgpr_workgroup_id_x 1
		.amdhsa_system_sgpr_workgroup_id_y 0
		.amdhsa_system_sgpr_workgroup_id_z 0
		.amdhsa_system_sgpr_workgroup_info 0
		.amdhsa_system_vgpr_workitem_id 0
		.amdhsa_next_free_vgpr 49
		.amdhsa_next_free_sgpr 40
		.amdhsa_accum_offset 52
		.amdhsa_reserve_vcc 1
		.amdhsa_float_round_mode_32 0
		.amdhsa_float_round_mode_16_64 0
		.amdhsa_float_denorm_mode_32 3
		.amdhsa_float_denorm_mode_16_64 3
		.amdhsa_dx10_clamp 1
		.amdhsa_ieee_mode 1
		.amdhsa_fp16_overflow 0
		.amdhsa_tg_split 0
		.amdhsa_exception_fp_ieee_invalid_op 0
		.amdhsa_exception_fp_denorm_src 0
		.amdhsa_exception_fp_ieee_div_zero 0
		.amdhsa_exception_fp_ieee_overflow 0
		.amdhsa_exception_fp_ieee_underflow 0
		.amdhsa_exception_fp_ieee_inexact 0
		.amdhsa_exception_int_div_zero 0
	.end_amdhsa_kernel
	.section	.text._ZL16k_set_rows_quantIl10block_q5_0Li32ETnPFvPKfPT0_EXadL_ZL23quantize_f32_q5_0_blockS2_PS0_EEEvS2_PKT_S4_llllllllllllll15HIP_vector_typeIjLj3EESC_SC_SC_SC_,"axG",@progbits,_ZL16k_set_rows_quantIl10block_q5_0Li32ETnPFvPKfPT0_EXadL_ZL23quantize_f32_q5_0_blockS2_PS0_EEEvS2_PKT_S4_llllllllllllll15HIP_vector_typeIjLj3EESC_SC_SC_SC_,comdat
.Lfunc_end5:
	.size	_ZL16k_set_rows_quantIl10block_q5_0Li32ETnPFvPKfPT0_EXadL_ZL23quantize_f32_q5_0_blockS2_PS0_EEEvS2_PKT_S4_llllllllllllll15HIP_vector_typeIjLj3EESC_SC_SC_SC_, .Lfunc_end5-_ZL16k_set_rows_quantIl10block_q5_0Li32ETnPFvPKfPT0_EXadL_ZL23quantize_f32_q5_0_blockS2_PS0_EEEvS2_PKT_S4_llllllllllllll15HIP_vector_typeIjLj3EESC_SC_SC_SC_
                                        ; -- End function
	.set _ZL16k_set_rows_quantIl10block_q5_0Li32ETnPFvPKfPT0_EXadL_ZL23quantize_f32_q5_0_blockS2_PS0_EEEvS2_PKT_S4_llllllllllllll15HIP_vector_typeIjLj3EESC_SC_SC_SC_.num_vgpr, 49
	.set _ZL16k_set_rows_quantIl10block_q5_0Li32ETnPFvPKfPT0_EXadL_ZL23quantize_f32_q5_0_blockS2_PS0_EEEvS2_PKT_S4_llllllllllllll15HIP_vector_typeIjLj3EESC_SC_SC_SC_.num_agpr, 0
	.set _ZL16k_set_rows_quantIl10block_q5_0Li32ETnPFvPKfPT0_EXadL_ZL23quantize_f32_q5_0_blockS2_PS0_EEEvS2_PKT_S4_llllllllllllll15HIP_vector_typeIjLj3EESC_SC_SC_SC_.numbered_sgpr, 40
	.set _ZL16k_set_rows_quantIl10block_q5_0Li32ETnPFvPKfPT0_EXadL_ZL23quantize_f32_q5_0_blockS2_PS0_EEEvS2_PKT_S4_llllllllllllll15HIP_vector_typeIjLj3EESC_SC_SC_SC_.num_named_barrier, 0
	.set _ZL16k_set_rows_quantIl10block_q5_0Li32ETnPFvPKfPT0_EXadL_ZL23quantize_f32_q5_0_blockS2_PS0_EEEvS2_PKT_S4_llllllllllllll15HIP_vector_typeIjLj3EESC_SC_SC_SC_.private_seg_size, 0
	.set _ZL16k_set_rows_quantIl10block_q5_0Li32ETnPFvPKfPT0_EXadL_ZL23quantize_f32_q5_0_blockS2_PS0_EEEvS2_PKT_S4_llllllllllllll15HIP_vector_typeIjLj3EESC_SC_SC_SC_.uses_vcc, 1
	.set _ZL16k_set_rows_quantIl10block_q5_0Li32ETnPFvPKfPT0_EXadL_ZL23quantize_f32_q5_0_blockS2_PS0_EEEvS2_PKT_S4_llllllllllllll15HIP_vector_typeIjLj3EESC_SC_SC_SC_.uses_flat_scratch, 0
	.set _ZL16k_set_rows_quantIl10block_q5_0Li32ETnPFvPKfPT0_EXadL_ZL23quantize_f32_q5_0_blockS2_PS0_EEEvS2_PKT_S4_llllllllllllll15HIP_vector_typeIjLj3EESC_SC_SC_SC_.has_dyn_sized_stack, 0
	.set _ZL16k_set_rows_quantIl10block_q5_0Li32ETnPFvPKfPT0_EXadL_ZL23quantize_f32_q5_0_blockS2_PS0_EEEvS2_PKT_S4_llllllllllllll15HIP_vector_typeIjLj3EESC_SC_SC_SC_.has_recursion, 0
	.set _ZL16k_set_rows_quantIl10block_q5_0Li32ETnPFvPKfPT0_EXadL_ZL23quantize_f32_q5_0_blockS2_PS0_EEEvS2_PKT_S4_llllllllllllll15HIP_vector_typeIjLj3EESC_SC_SC_SC_.has_indirect_call, 0
	.section	.AMDGPU.csdata,"",@progbits
; Kernel info:
; codeLenInByte = 2160
; TotalNumSgprs: 46
; NumVgprs: 49
; NumAgprs: 0
; TotalNumVgprs: 49
; ScratchSize: 0
; MemoryBound: 0
; FloatMode: 240
; IeeeMode: 1
; LDSByteSize: 0 bytes/workgroup (compile time only)
; SGPRBlocks: 5
; VGPRBlocks: 6
; NumSGPRsForWavesPerEU: 46
; NumVGPRsForWavesPerEU: 49
; AccumOffset: 52
; Occupancy: 8
; WaveLimiterHint : 1
; COMPUTE_PGM_RSRC2:SCRATCH_EN: 0
; COMPUTE_PGM_RSRC2:USER_SGPR: 2
; COMPUTE_PGM_RSRC2:TRAP_HANDLER: 0
; COMPUTE_PGM_RSRC2:TGID_X_EN: 1
; COMPUTE_PGM_RSRC2:TGID_Y_EN: 0
; COMPUTE_PGM_RSRC2:TGID_Z_EN: 0
; COMPUTE_PGM_RSRC2:TIDIG_COMP_CNT: 0
; COMPUTE_PGM_RSRC3_GFX90A:ACCUM_OFFSET: 12
; COMPUTE_PGM_RSRC3_GFX90A:TG_SPLIT: 0
	.section	.text._ZL16k_set_rows_quantIl10block_q5_1Li32ETnPFvPKfPT0_EXadL_ZL23quantize_f32_q5_1_blockS2_PS0_EEEvS2_PKT_S4_llllllllllllll15HIP_vector_typeIjLj3EESC_SC_SC_SC_,"axG",@progbits,_ZL16k_set_rows_quantIl10block_q5_1Li32ETnPFvPKfPT0_EXadL_ZL23quantize_f32_q5_1_blockS2_PS0_EEEvS2_PKT_S4_llllllllllllll15HIP_vector_typeIjLj3EESC_SC_SC_SC_,comdat
	.globl	_ZL16k_set_rows_quantIl10block_q5_1Li32ETnPFvPKfPT0_EXadL_ZL23quantize_f32_q5_1_blockS2_PS0_EEEvS2_PKT_S4_llllllllllllll15HIP_vector_typeIjLj3EESC_SC_SC_SC_ ; -- Begin function _ZL16k_set_rows_quantIl10block_q5_1Li32ETnPFvPKfPT0_EXadL_ZL23quantize_f32_q5_1_blockS2_PS0_EEEvS2_PKT_S4_llllllllllllll15HIP_vector_typeIjLj3EESC_SC_SC_SC_
	.p2align	8
	.type	_ZL16k_set_rows_quantIl10block_q5_1Li32ETnPFvPKfPT0_EXadL_ZL23quantize_f32_q5_1_blockS2_PS0_EEEvS2_PKT_S4_llllllllllllll15HIP_vector_typeIjLj3EESC_SC_SC_SC_,@function
_ZL16k_set_rows_quantIl10block_q5_1Li32ETnPFvPKfPT0_EXadL_ZL23quantize_f32_q5_1_blockS2_PS0_EEEvS2_PKT_S4_llllllllllllll15HIP_vector_typeIjLj3EESC_SC_SC_SC_: ; @_ZL16k_set_rows_quantIl10block_q5_1Li32ETnPFvPKfPT0_EXadL_ZL23quantize_f32_q5_1_blockS2_PS0_EEEvS2_PKT_S4_llllllllllllll15HIP_vector_typeIjLj3EESC_SC_SC_SC_
; %bb.0:
	s_load_dword s3, s[0:1], 0xd4
	s_load_dwordx2 s[4:5], s[0:1], 0x18
	v_mov_b32_e32 v1, 0
	v_mov_b32_e32 v2, s2
	s_waitcnt lgkmcnt(0)
	s_and_b32 s3, s3, 0xffff
	v_mad_u64_u32 v[2:3], s[2:3], s3, v2, v[0:1]
	v_cmp_gt_i64_e32 vcc, s[4:5], v[2:3]
	s_and_saveexec_b64 s[2:3], vcc
	s_cbranch_execz .LBB6_4
; %bb.1:
	s_load_dwordx4 s[28:31], s[0:1], 0x0
	s_load_dwordx2 s[2:3], s[0:1], 0x10
	s_load_dwordx16 s[4:19], s[0:1], 0x40
	s_load_dwordx8 s[20:27], s[0:1], 0x88
	s_load_dword s33, s[0:1], 0xc0
	s_load_dwordx2 s[34:35], s[0:1], 0xb8
	s_load_dwordx4 s[36:39], s[0:1], 0xa8
	v_lshlrev_b32_e32 v8, 5, v2
	s_waitcnt lgkmcnt(0)
	v_mul_hi_u32 v0, s20, v8
	v_add_u32_e32 v0, v8, v0
	v_lshrrev_b32_e32 v9, s21, v0
	v_mul_hi_u32 v0, v9, s23
	v_add_u32_e32 v0, v9, v0
	v_lshrrev_b32_e32 v0, s24, v0
	v_mul_lo_u32 v2, v0, s25
	v_sub_u32_e32 v12, v9, v2
	v_mul_hi_u32 v2, v0, s26
	v_add_u32_e32 v2, v0, v2
	v_lshrrev_b32_e32 v24, s27, v2
	v_mul_lo_u32 v2, v24, s36
	v_sub_u32_e32 v42, v0, v2
	;; [unrolled: 5-line block ×3, first 2 shown]
	v_mul_hi_u32 v0, v42, s37
	v_add_u32_e32 v0, v42, v0
	v_lshrrev_b32_e32 v0, s38, v0
	v_mul_lo_u32 v0, v0, s39
	v_mad_u64_u32 v[2:3], s[20:21], s10, v12, 0
	v_sub_u32_e32 v6, v42, v0
	v_mov_b32_e32 v0, v3
	v_mad_u64_u32 v[4:5], s[10:11], s11, v12, v[0:1]
	v_mov_b32_e32 v3, v4
	v_mad_u64_u32 v[4:5], s[10:11], s12, v6, 0
	;; [unrolled: 2-line block ×3, first 2 shown]
	v_lshl_add_u64 v[2:3], v[2:3], 3, s[30:31]
	v_mov_b32_e32 v5, v6
	v_lshl_add_u64 v[2:3], v[4:5], 3, v[2:3]
	v_mad_u64_u32 v[4:5], s[10:11], s14, v10, 0
	v_mov_b32_e32 v0, v5
	v_mad_u64_u32 v[6:7], s[10:11], s15, v10, v[0:1]
	v_mov_b32_e32 v5, v6
	v_lshl_add_u64 v[2:3], v[4:5], 3, v[2:3]
	global_load_dwordx2 v[10:11], v[2:3], off
	v_mad_u64_u32 v[2:3], s[10:11], s4, v12, 0
	v_mov_b32_e32 v4, v3
	v_mad_u64_u32 v[4:5], s[4:5], s5, v12, v[4:5]
	v_mov_b32_e32 v3, v4
	;; [unrolled: 2-line block ×4, first 2 shown]
	v_lshlrev_b64 v[18:19], 2, v[4:5]
	v_mad_u64_u32 v[4:5], s[4:5], s8, v24, 0
	v_mov_b32_e32 v6, v5
	v_lshlrev_b64 v[16:17], 2, v[2:3]
	v_mad_u64_u32 v[6:7], s[4:5], s9, v24, v[6:7]
	v_mul_lo_u32 v0, v9, s22
	v_lshl_add_u64 v[2:3], s[28:29], 0, v[16:17]
	v_mov_b32_e32 v5, v6
	v_sub_u32_e32 v0, v8, v0
	v_lshl_add_u64 v[2:3], v[2:3], 0, v[18:19]
	v_lshlrev_b64 v[20:21], 2, v[4:5]
	v_lshl_add_u64 v[2:3], v[2:3], 0, v[20:21]
	v_lshlrev_b64 v[22:23], 2, v[0:1]
	v_lshl_add_u64 v[14:15], v[2:3], 0, v[22:23]
	global_load_dwordx4 v[26:29], v[14:15], off
	global_load_dwordx4 v[30:33], v[14:15], off offset:16
	global_load_dwordx4 v[6:9], v[14:15], off offset:32
	;; [unrolled: 1-line block ×3, first 2 shown]
	s_load_dwordx2 s[4:5], s[0:1], 0x80
	v_mov_b32_e32 v13, v1
	global_load_dwordx4 v[34:37], v[14:15], off offset:80
	global_load_dwordx4 v[38:41], v[14:15], off offset:64
	s_mov_b32 s0, 0xaaaaaaab
	v_mov_b32_e32 v25, v1
	s_mov_b32 s8, 0xaaaaaaaa
	v_mov_b32_e32 v43, v1
	v_lshrrev_b32_e32 v0, 5, v0
	s_mov_b32 s1, 0
	s_waitcnt vmcnt(6)
	v_mul_lo_u32 v12, v11, s16
	v_mul_lo_u32 v44, v10, s17
	v_mad_u64_u32 v[10:11], s[6:7], v10, s16, 0
	v_add3_u32 v11, v11, v44, v12
	s_waitcnt lgkmcnt(0)
	v_mad_u64_u32 v[10:11], s[6:7], s4, v24, v[10:11]
	v_mov_b32_e32 v12, v11
	v_mad_u64_u32 v[44:45], s[4:5], s5, v24, v[12:13]
	v_mov_b32_e32 v11, v44
	v_mad_u64_u32 v[10:11], s[4:5], s18, v42, v[10:11]
	v_mov_b32_e32 v24, v11
	v_mul_hi_u32 v12, v10, s0
	v_mad_u64_u32 v[44:45], s[4:5], s19, v42, v[24:25]
	v_mad_u64_u32 v[12:13], s[4:5], v44, s0, v[12:13]
	v_mov_b32_e32 v24, v13
	v_mov_b32_e32 v13, v1
	v_mad_u64_u32 v[10:11], s[4:5], v10, s8, v[12:13]
	v_mov_b32_e32 v42, v11
	v_lshl_add_u64 v[10:11], v[24:25], 0, v[42:43]
	v_mad_u64_u32 v[10:11], s[4:5], v44, s8, v[10:11]
	s_waitcnt vmcnt(5)
	v_cmp_gt_f32_e32 vcc, v27, v26
	v_alignbit_b32 v42, v11, v10, 4
	v_lshrrev_b32_e32 v43, 4, v11
	v_cndmask_b32_e32 v10, v26, v27, vcc
	v_cmp_gt_f32_e32 vcc, v26, v27
	s_mov_b32 s0, 0x41f80000
	v_mad_u64_u32 v[24:25], s[4:5], v42, 24, s[2:3]
	v_cndmask_b32_e32 v11, v26, v27, vcc
	v_cmp_gt_f32_e32 vcc, v28, v10
	s_nop 1
	v_cndmask_b32_e32 v10, v10, v28, vcc
	v_cmp_gt_f32_e32 vcc, v11, v28
	s_nop 1
	;; [unrolled: 3-line block ×4, first 2 shown]
	v_cndmask_b32_e32 v45, v11, v29, vcc
	global_load_dwordx4 v[10:13], v[14:15], off offset:112
	global_load_dwordx4 v[26:29], v[14:15], off offset:96
	s_waitcnt vmcnt(6)
	v_cmp_gt_f32_e32 vcc, v30, v44
	s_nop 1
	v_cndmask_b32_e32 v44, v44, v30, vcc
	v_cmp_gt_f32_e32 vcc, v45, v30
	s_nop 1
	v_cndmask_b32_e32 v30, v45, v30, vcc
	;; [unrolled: 3-line block ×8, first 2 shown]
	s_waitcnt vmcnt(5)
	v_cmp_gt_f32_e32 vcc, v6, v31
	s_nop 1
	v_cndmask_b32_e32 v31, v31, v6, vcc
	v_cmp_gt_f32_e32 vcc, v30, v6
	s_nop 1
	v_cndmask_b32_e32 v6, v30, v6, vcc
	;; [unrolled: 3-line block ×3, first 2 shown]
	v_cmp_lt_f32_e32 vcc, v7, v6
	s_nop 1
	v_cndmask_b32_e32 v6, v6, v7, vcc
	v_cmp_gt_f32_e32 vcc, v8, v30
	s_nop 1
	v_cndmask_b32_e32 v7, v30, v8, vcc
	v_cmp_gt_f32_e32 vcc, v6, v8
	;; [unrolled: 3-line block ×4, first 2 shown]
	s_nop 1
	v_cndmask_b32_e32 v6, v6, v9, vcc
	s_waitcnt vmcnt(4)
	v_cmp_gt_f32_e32 vcc, v2, v7
	s_nop 1
	v_cndmask_b32_e32 v7, v7, v2, vcc
	v_cmp_gt_f32_e32 vcc, v6, v2
	s_nop 1
	v_cndmask_b32_e32 v2, v6, v2, vcc
	;; [unrolled: 3-line block ×5, first 2 shown]
	v_cmp_gt_f32_e32 vcc, v2, v4
	v_mul_lo_u32 v6, v43, 24
	v_add_u32_e32 v25, v6, v25
	v_cndmask_b32_e32 v2, v2, v4, vcc
	v_cmp_gt_f32_e32 vcc, v5, v3
	s_nop 1
	v_cndmask_b32_e32 v3, v3, v5, vcc
	v_cmp_gt_f32_e32 vcc, v2, v5
	s_nop 1
	v_cndmask_b32_e32 v2, v2, v5, vcc
	s_waitcnt vmcnt(2)
	v_cmp_gt_f32_e32 vcc, v38, v3
	s_nop 1
	v_cndmask_b32_e32 v3, v3, v38, vcc
	v_cmp_gt_f32_e32 vcc, v2, v38
	s_nop 1
	v_cndmask_b32_e32 v2, v2, v38, vcc
	;; [unrolled: 3-line block ×8, first 2 shown]
	v_cmp_lt_f32_e32 vcc, v34, v2
	s_nop 1
	v_cndmask_b32_e32 v2, v2, v34, vcc
	v_cmp_gt_f32_e32 vcc, v34, v3
	s_nop 1
	v_cndmask_b32_e32 v3, v3, v34, vcc
	v_cmp_gt_f32_e32 vcc, v2, v35
	;; [unrolled: 3-line block ×7, first 2 shown]
	s_nop 1
	v_cndmask_b32_e32 v3, v3, v37, vcc
	s_waitcnt vmcnt(0)
	v_cmp_gt_f32_e32 vcc, v2, v26
	s_nop 1
	v_cndmask_b32_e32 v2, v2, v26, vcc
	v_cmp_gt_f32_e32 vcc, v26, v3
	s_nop 1
	v_cndmask_b32_e32 v3, v3, v26, vcc
	;; [unrolled: 3-line block ×16, first 2 shown]
	v_sub_f32_e32 v2, v2, v8
	v_div_scale_f32 v3, s[4:5], s0, s0, v2
	v_rcp_f32_e32 v4, v3
	s_nop 0
	v_fma_f32 v5, -v3, v4, 1.0
	v_fmac_f32_e32 v4, v5, v4
	v_div_scale_f32 v5, vcc, v2, s0, v2
	v_mul_f32_e32 v7, v5, v4
	v_fma_f32 v9, -v3, v7, v5
	v_fmac_f32_e32 v7, v9, v4
	v_fma_f32 v3, -v3, v7, v5
	v_div_fmas_f32 v3, v3, v4, v7
	v_div_fixup_f32 v4, v3, s0, v2
	v_div_scale_f32 v5, s[4:5], v4, v4, 1.0
	v_rcp_f32_e32 v7, v5
	v_mad_u64_u32 v[2:3], s[4:5], v0, 24, v[24:25]
	v_mul_lo_u32 v0, v0, 24
	v_fma_f32 v9, -v5, v7, 1.0
	v_fmac_f32_e32 v7, v9, v7
	v_div_scale_f32 v9, vcc, 1.0, v4, 1.0
	v_mul_f32_e32 v10, v9, v7
	v_fma_f32 v11, -v5, v10, v9
	v_fmac_f32_e32 v10, v11, v7
	v_fma_f32 v5, -v5, v10, v9
	v_div_fmas_f32 v5, v5, v7, v10
	v_div_fixup_f32 v5, v5, v4, 1.0
	v_cmp_neq_f32_e32 vcc, 0, v4
	v_cvt_pk_f16_f32 v4, v4, v8
	global_store_dword v[2:3], v4, off
	v_cndmask_b32_e32 v9, 0, v5, vcc
	v_mad_u64_u32 v[4:5], s[4:5], v42, 24, v[0:1]
	v_add_u32_e32 v5, v6, v5
	v_lshl_add_u64 v[6:7], v[20:21], 0, v[18:19]
	v_lshl_add_u64 v[6:7], v[6:7], 0, v[16:17]
	v_lshl_add_u64 v[6:7], v[6:7], 0, v[22:23]
	v_lshl_add_u64 v[6:7], s[28:29], 0, v[6:7]
	v_lshl_add_u64 v[4:5], s[2:3], 0, v[4:5]
	v_lshl_add_u64 v[6:7], v[6:7], 0, 64
	s_mov_b64 s[2:3], 0
	s_movk_i32 s4, 0xff
	s_mov_b32 s5, 0xff000000
	v_mov_b32_e32 v0, 15
	v_mov_b32_e32 v11, 0
	;; [unrolled: 1-line block ×3, first 2 shown]
.LBB6_2:                                ; =>This Inner Loop Header: Depth=1
	s_or_b32 s0, s2, 17
	v_lshl_add_u64 v[12:13], s[0:1], 2, v[14:15]
	global_load_dword v12, v[12:13], off
	v_and_b32_e32 v11, 0xff0000, v11
	v_and_b32_e32 v1, 0xffff, v1
	v_or3_b32 v1, v11, v10, v1
	s_add_i32 s6, s2, 16
	s_add_i32 s7, s2, 1
	;; [unrolled: 1-line block ×4, first 2 shown]
	s_waitcnt vmcnt(0)
	v_sub_f32_e32 v12, v12, v8
	v_fma_f32 v12, v9, v12, 0.5
	v_cvt_i32_f32_e32 v20, v12
	v_lshrrev_b16_e32 v12, 4, v20
	v_and_b32_e32 v12, 1, v12
	v_lshlrev_b32_sdwa v21, s0, v12 dst_sel:DWORD dst_unused:UNUSED_PAD src0_sel:DWORD src1_sel:WORD_0
	s_or_b32 s0, s2, 18
	v_lshl_add_u64 v[12:13], s[0:1], 2, v[14:15]
	global_load_dword v22, v[12:13], off
	global_load_dwordx4 v[16:19], v[6:7], off offset:-64
	global_load_dword v23, v[6:7], off
	v_lshlrev_b16_e32 v20, 12, v20
	v_lshl_add_u64 v[6:7], v[6:7], 0, 16
	s_waitcnt vmcnt(2)
	v_sub_f32_e32 v12, v22, v8
	v_fma_f32 v12, v9, v12, 0.5
	v_cvt_i32_f32_e32 v22, v12
	s_waitcnt vmcnt(1)
	v_sub_f32_e32 v10, v16, v8
	s_waitcnt vmcnt(0)
	v_sub_f32_e32 v11, v23, v8
	v_fma_f32 v10, v9, v10, 0.5
	v_lshrrev_b16_e32 v12, 4, v22
	v_and_b32_e32 v12, 1, v12
	v_lshlrev_b32_sdwa v24, s0, v12 dst_sel:DWORD dst_unused:UNUSED_PAD src0_sel:DWORD src1_sel:WORD_0
	s_or_b32 s0, s2, 19
	v_lshl_add_u64 v[12:13], s[0:1], 2, v[14:15]
	global_load_dword v25, v[12:13], off
	v_fma_f32 v11, v9, v11, 0.5
	v_sub_f32_e32 v16, v17, v8
	v_cvt_i32_f32_e32 v10, v10
	v_cvt_i32_f32_e32 v11, v11
	v_fma_f32 v16, v9, v16, 0.5
	v_cvt_i32_f32_e32 v16, v16
	v_sub_f32_e32 v17, v18, v8
	v_sub_f32_e32 v18, v19, v8
	v_lshlrev_b16_e32 v19, 4, v11
	v_lshrrev_b16_e32 v23, 4, v10
	v_lshrrev_b16_e32 v11, 4, v11
	v_bitop3_b16 v10, v19, v10, 15 bitop3:0xf8
	v_and_b32_e32 v19, 1, v23
	v_and_b32_e32 v11, 1, v11
	v_and_b32_sdwa v26, v16, v0 dst_sel:BYTE_1 dst_unused:UNUSED_PAD src0_sel:DWORD src1_sel:DWORD
	v_lshlrev_b32_sdwa v19, s2, v19 dst_sel:DWORD dst_unused:UNUSED_PAD src0_sel:DWORD src1_sel:WORD_0
	v_lshlrev_b32_sdwa v11, s6, v11 dst_sel:DWORD dst_unused:UNUSED_PAD src0_sel:DWORD src1_sel:WORD_0
	v_or3_b32 v1, v19, v1, v11
	v_or_b32_e32 v11, v20, v26
	v_fma_f32 v17, v9, v17, 0.5
	v_bitop3_b16 v19, v10, v11, s4 bitop3:0xec
	v_fma_f32 v18, v9, v18, 0.5
	v_cvt_i32_f32_e32 v17, v17
	v_cvt_i32_f32_e32 v18, v18
	v_lshrrev_b16_e32 v16, 4, v16
	v_and_b32_e32 v16, 1, v16
	v_lshrrev_b16_e32 v27, 4, v17
	v_lshlrev_b32_sdwa v16, s7, v16 dst_sel:DWORD dst_unused:UNUSED_PAD src0_sel:DWORD src1_sel:WORD_0
	v_and_b32_sdwa v28, v18, v0 dst_sel:BYTE_1 dst_unused:UNUSED_PAD src0_sel:DWORD src1_sel:DWORD
	v_lshrrev_b16_e32 v18, 4, v18
	v_and_b32_e32 v23, 1, v27
	v_or3_b32 v1, v16, v1, v21
	v_lshlrev_b16_e32 v10, 4, v22
	v_and_b32_e32 v18, 1, v18
	v_lshlrev_b32_sdwa v23, s8, v23 dst_sel:DWORD dst_unused:UNUSED_PAD src0_sel:DWORD src1_sel:WORD_0
	v_bitop3_b16 v10, v10, v17, 15 bitop3:0xf8
	v_lshl_add_u64 v[12:13], v[4:5], 0, s[2:3]
	v_and_b32_e32 v18, 0xffff, v18
	v_or3_b32 v1, v23, v1, v24
	s_add_u32 s2, s2, 4
	v_lshl_or_b32 v1, v18, s9, v1
	s_addc_u32 s3, s3, 0
	s_cmp_lg_u32 s2, 16
	s_waitcnt vmcnt(0)
	v_sub_f32_e32 v11, v25, v8
	v_fma_f32 v11, v9, v11, 0.5
	v_cvt_i32_f32_e32 v11, v11
	v_lshlrev_b16_e32 v16, 12, v11
	v_lshrrev_b16_e32 v11, 4, v11
	v_or_b32_e32 v16, v16, v28
	v_and_b32_e32 v11, 1, v11
	v_bitop3_b16 v10, v10, v16, s4 bitop3:0xec
	v_lshlrev_b32_sdwa v16, s0, v11 dst_sel:DWORD dst_unused:UNUSED_PAD src0_sel:DWORD src1_sel:WORD_0
	v_lshlrev_b32_e32 v17, 16, v10
	v_or_b32_e32 v11, v1, v16
	v_bitop3_b32 v10, v1, s5, v16 bitop3:0xc8
	v_or_b32_sdwa v16, v19, v17 dst_sel:DWORD dst_unused:UNUSED_PAD src0_sel:WORD_0 src1_sel:DWORD
	global_store_dword v[12:13], v16, off offset:8
	s_cbranch_scc1 .LBB6_2
; %bb.3:
	s_mov_b32 s0, 0xffff
	v_bfi_b32 v0, s0, v1, v11
	global_store_dword v[2:3], v0, off offset:4
.LBB6_4:
	s_endpgm
	.section	.rodata,"a",@progbits
	.p2align	6, 0x0
	.amdhsa_kernel _ZL16k_set_rows_quantIl10block_q5_1Li32ETnPFvPKfPT0_EXadL_ZL23quantize_f32_q5_1_blockS2_PS0_EEEvS2_PKT_S4_llllllllllllll15HIP_vector_typeIjLj3EESC_SC_SC_SC_
		.amdhsa_group_segment_fixed_size 0
		.amdhsa_private_segment_fixed_size 0
		.amdhsa_kernarg_size 456
		.amdhsa_user_sgpr_count 2
		.amdhsa_user_sgpr_dispatch_ptr 0
		.amdhsa_user_sgpr_queue_ptr 0
		.amdhsa_user_sgpr_kernarg_segment_ptr 1
		.amdhsa_user_sgpr_dispatch_id 0
		.amdhsa_user_sgpr_kernarg_preload_length 0
		.amdhsa_user_sgpr_kernarg_preload_offset 0
		.amdhsa_user_sgpr_private_segment_size 0
		.amdhsa_uses_dynamic_stack 0
		.amdhsa_enable_private_segment 0
		.amdhsa_system_sgpr_workgroup_id_x 1
		.amdhsa_system_sgpr_workgroup_id_y 0
		.amdhsa_system_sgpr_workgroup_id_z 0
		.amdhsa_system_sgpr_workgroup_info 0
		.amdhsa_system_vgpr_workitem_id 0
		.amdhsa_next_free_vgpr 46
		.amdhsa_next_free_sgpr 40
		.amdhsa_accum_offset 48
		.amdhsa_reserve_vcc 1
		.amdhsa_float_round_mode_32 0
		.amdhsa_float_round_mode_16_64 0
		.amdhsa_float_denorm_mode_32 3
		.amdhsa_float_denorm_mode_16_64 3
		.amdhsa_dx10_clamp 1
		.amdhsa_ieee_mode 1
		.amdhsa_fp16_overflow 0
		.amdhsa_tg_split 0
		.amdhsa_exception_fp_ieee_invalid_op 0
		.amdhsa_exception_fp_denorm_src 0
		.amdhsa_exception_fp_ieee_div_zero 0
		.amdhsa_exception_fp_ieee_overflow 0
		.amdhsa_exception_fp_ieee_underflow 0
		.amdhsa_exception_fp_ieee_inexact 0
		.amdhsa_exception_int_div_zero 0
	.end_amdhsa_kernel
	.section	.text._ZL16k_set_rows_quantIl10block_q5_1Li32ETnPFvPKfPT0_EXadL_ZL23quantize_f32_q5_1_blockS2_PS0_EEEvS2_PKT_S4_llllllllllllll15HIP_vector_typeIjLj3EESC_SC_SC_SC_,"axG",@progbits,_ZL16k_set_rows_quantIl10block_q5_1Li32ETnPFvPKfPT0_EXadL_ZL23quantize_f32_q5_1_blockS2_PS0_EEEvS2_PKT_S4_llllllllllllll15HIP_vector_typeIjLj3EESC_SC_SC_SC_,comdat
.Lfunc_end6:
	.size	_ZL16k_set_rows_quantIl10block_q5_1Li32ETnPFvPKfPT0_EXadL_ZL23quantize_f32_q5_1_blockS2_PS0_EEEvS2_PKT_S4_llllllllllllll15HIP_vector_typeIjLj3EESC_SC_SC_SC_, .Lfunc_end6-_ZL16k_set_rows_quantIl10block_q5_1Li32ETnPFvPKfPT0_EXadL_ZL23quantize_f32_q5_1_blockS2_PS0_EEEvS2_PKT_S4_llllllllllllll15HIP_vector_typeIjLj3EESC_SC_SC_SC_
                                        ; -- End function
	.set _ZL16k_set_rows_quantIl10block_q5_1Li32ETnPFvPKfPT0_EXadL_ZL23quantize_f32_q5_1_blockS2_PS0_EEEvS2_PKT_S4_llllllllllllll15HIP_vector_typeIjLj3EESC_SC_SC_SC_.num_vgpr, 46
	.set _ZL16k_set_rows_quantIl10block_q5_1Li32ETnPFvPKfPT0_EXadL_ZL23quantize_f32_q5_1_blockS2_PS0_EEEvS2_PKT_S4_llllllllllllll15HIP_vector_typeIjLj3EESC_SC_SC_SC_.num_agpr, 0
	.set _ZL16k_set_rows_quantIl10block_q5_1Li32ETnPFvPKfPT0_EXadL_ZL23quantize_f32_q5_1_blockS2_PS0_EEEvS2_PKT_S4_llllllllllllll15HIP_vector_typeIjLj3EESC_SC_SC_SC_.numbered_sgpr, 40
	.set _ZL16k_set_rows_quantIl10block_q5_1Li32ETnPFvPKfPT0_EXadL_ZL23quantize_f32_q5_1_blockS2_PS0_EEEvS2_PKT_S4_llllllllllllll15HIP_vector_typeIjLj3EESC_SC_SC_SC_.num_named_barrier, 0
	.set _ZL16k_set_rows_quantIl10block_q5_1Li32ETnPFvPKfPT0_EXadL_ZL23quantize_f32_q5_1_blockS2_PS0_EEEvS2_PKT_S4_llllllllllllll15HIP_vector_typeIjLj3EESC_SC_SC_SC_.private_seg_size, 0
	.set _ZL16k_set_rows_quantIl10block_q5_1Li32ETnPFvPKfPT0_EXadL_ZL23quantize_f32_q5_1_blockS2_PS0_EEEvS2_PKT_S4_llllllllllllll15HIP_vector_typeIjLj3EESC_SC_SC_SC_.uses_vcc, 1
	.set _ZL16k_set_rows_quantIl10block_q5_1Li32ETnPFvPKfPT0_EXadL_ZL23quantize_f32_q5_1_blockS2_PS0_EEEvS2_PKT_S4_llllllllllllll15HIP_vector_typeIjLj3EESC_SC_SC_SC_.uses_flat_scratch, 0
	.set _ZL16k_set_rows_quantIl10block_q5_1Li32ETnPFvPKfPT0_EXadL_ZL23quantize_f32_q5_1_blockS2_PS0_EEEvS2_PKT_S4_llllllllllllll15HIP_vector_typeIjLj3EESC_SC_SC_SC_.has_dyn_sized_stack, 0
	.set _ZL16k_set_rows_quantIl10block_q5_1Li32ETnPFvPKfPT0_EXadL_ZL23quantize_f32_q5_1_blockS2_PS0_EEEvS2_PKT_S4_llllllllllllll15HIP_vector_typeIjLj3EESC_SC_SC_SC_.has_recursion, 0
	.set _ZL16k_set_rows_quantIl10block_q5_1Li32ETnPFvPKfPT0_EXadL_ZL23quantize_f32_q5_1_blockS2_PS0_EEEvS2_PKT_S4_llllllllllllll15HIP_vector_typeIjLj3EESC_SC_SC_SC_.has_indirect_call, 0
	.section	.AMDGPU.csdata,"",@progbits
; Kernel info:
; codeLenInByte = 2408
; TotalNumSgprs: 46
; NumVgprs: 46
; NumAgprs: 0
; TotalNumVgprs: 46
; ScratchSize: 0
; MemoryBound: 0
; FloatMode: 240
; IeeeMode: 1
; LDSByteSize: 0 bytes/workgroup (compile time only)
; SGPRBlocks: 5
; VGPRBlocks: 5
; NumSGPRsForWavesPerEU: 46
; NumVGPRsForWavesPerEU: 46
; AccumOffset: 48
; Occupancy: 8
; WaveLimiterHint : 1
; COMPUTE_PGM_RSRC2:SCRATCH_EN: 0
; COMPUTE_PGM_RSRC2:USER_SGPR: 2
; COMPUTE_PGM_RSRC2:TRAP_HANDLER: 0
; COMPUTE_PGM_RSRC2:TGID_X_EN: 1
; COMPUTE_PGM_RSRC2:TGID_Y_EN: 0
; COMPUTE_PGM_RSRC2:TGID_Z_EN: 0
; COMPUTE_PGM_RSRC2:TIDIG_COMP_CNT: 0
; COMPUTE_PGM_RSRC3_GFX90A:ACCUM_OFFSET: 11
; COMPUTE_PGM_RSRC3_GFX90A:TG_SPLIT: 0
	.section	.text._ZL16k_set_rows_quantIl10block_q8_0Li32ETnPFvPKfPT0_EXadL_ZL23quantize_f32_q8_0_blockS2_PS0_EEEvS2_PKT_S4_llllllllllllll15HIP_vector_typeIjLj3EESC_SC_SC_SC_,"axG",@progbits,_ZL16k_set_rows_quantIl10block_q8_0Li32ETnPFvPKfPT0_EXadL_ZL23quantize_f32_q8_0_blockS2_PS0_EEEvS2_PKT_S4_llllllllllllll15HIP_vector_typeIjLj3EESC_SC_SC_SC_,comdat
	.globl	_ZL16k_set_rows_quantIl10block_q8_0Li32ETnPFvPKfPT0_EXadL_ZL23quantize_f32_q8_0_blockS2_PS0_EEEvS2_PKT_S4_llllllllllllll15HIP_vector_typeIjLj3EESC_SC_SC_SC_ ; -- Begin function _ZL16k_set_rows_quantIl10block_q8_0Li32ETnPFvPKfPT0_EXadL_ZL23quantize_f32_q8_0_blockS2_PS0_EEEvS2_PKT_S4_llllllllllllll15HIP_vector_typeIjLj3EESC_SC_SC_SC_
	.p2align	8
	.type	_ZL16k_set_rows_quantIl10block_q8_0Li32ETnPFvPKfPT0_EXadL_ZL23quantize_f32_q8_0_blockS2_PS0_EEEvS2_PKT_S4_llllllllllllll15HIP_vector_typeIjLj3EESC_SC_SC_SC_,@function
_ZL16k_set_rows_quantIl10block_q8_0Li32ETnPFvPKfPT0_EXadL_ZL23quantize_f32_q8_0_blockS2_PS0_EEEvS2_PKT_S4_llllllllllllll15HIP_vector_typeIjLj3EESC_SC_SC_SC_: ; @_ZL16k_set_rows_quantIl10block_q8_0Li32ETnPFvPKfPT0_EXadL_ZL23quantize_f32_q8_0_blockS2_PS0_EEEvS2_PKT_S4_llllllllllllll15HIP_vector_typeIjLj3EESC_SC_SC_SC_
; %bb.0:
	s_load_dword s3, s[0:1], 0xd4
	s_load_dwordx2 s[4:5], s[0:1], 0x18
	v_mov_b32_e32 v1, 0
	v_mov_b32_e32 v2, s2
	s_waitcnt lgkmcnt(0)
	s_and_b32 s3, s3, 0xffff
	v_mad_u64_u32 v[2:3], s[2:3], s3, v2, v[0:1]
	v_cmp_gt_i64_e32 vcc, s[4:5], v[2:3]
	s_and_saveexec_b64 s[2:3], vcc
	s_cbranch_execz .LBB7_2
; %bb.1:
	s_load_dwordx4 s[20:23], s[0:1], 0x0
	s_load_dwordx2 s[2:3], s[0:1], 0x10
	s_load_dwordx16 s[4:19], s[0:1], 0x40
	s_load_dwordx8 s[24:31], s[0:1], 0x88
	s_load_dword s33, s[0:1], 0xc0
	s_load_dwordx2 s[34:35], s[0:1], 0xb8
	s_load_dwordx4 s[36:39], s[0:1], 0xa8
	v_lshlrev_b32_e32 v0, 5, v2
	s_waitcnt lgkmcnt(0)
	v_mul_hi_u32 v2, s24, v0
	v_add_u32_e32 v2, v0, v2
	v_lshrrev_b32_e32 v2, s25, v2
	v_mul_lo_u32 v3, v2, s26
	v_sub_u32_e32 v0, v0, v3
	v_mul_hi_u32 v3, v2, s27
	v_add_u32_e32 v3, v2, v3
	v_lshrrev_b32_e32 v3, s28, v3
	v_mul_lo_u32 v4, v3, s29
	v_sub_u32_e32 v9, v2, v4
	;; [unrolled: 5-line block ×5, first 2 shown]
	v_mad_u64_u32 v[2:3], s[24:25], s10, v9, 0
	v_mov_b32_e32 v4, v3
	v_mad_u64_u32 v[4:5], s[10:11], s11, v9, v[4:5]
	v_mov_b32_e32 v3, v4
	;; [unrolled: 2-line block ×3, first 2 shown]
	v_mad_u64_u32 v[6:7], s[10:11], s13, v7, v[6:7]
	v_lshl_add_u64 v[2:3], v[2:3], 3, s[22:23]
	v_mov_b32_e32 v5, v6
	v_lshl_add_u64 v[2:3], v[4:5], 3, v[2:3]
	v_mad_u64_u32 v[4:5], s[10:11], s14, v8, 0
	v_mov_b32_e32 v6, v5
	v_mad_u64_u32 v[6:7], s[10:11], s15, v8, v[6:7]
	v_mov_b32_e32 v5, v6
	;; [unrolled: 2-line block ×5, first 2 shown]
	v_mad_u64_u32 v[10:11], s[4:5], s7, v44, v[10:11]
	v_lshl_add_u64 v[6:7], v[6:7], 2, s[20:21]
	v_mov_b32_e32 v9, v10
	v_lshl_add_u64 v[6:7], v[8:9], 2, v[6:7]
	v_mad_u64_u32 v[8:9], s[4:5], s8, v40, 0
	v_mov_b32_e32 v10, v9
	v_mad_u64_u32 v[10:11], s[4:5], s9, v40, v[10:11]
	v_mov_b32_e32 v9, v10
	v_lshl_add_u64 v[6:7], v[8:9], 2, v[6:7]
	v_lshl_add_u64 v[26:27], v[0:1], 2, v[6:7]
	global_load_dwordx4 v[28:31], v[26:27], off
	v_lshl_add_u64 v[36:37], v[4:5], 3, v[2:3]
	global_load_dwordx2 v[38:39], v[36:37], off
	global_load_dwordx4 v[32:35], v[26:27], off offset:16
	global_load_dwordx4 v[18:21], v[26:27], off offset:32
	;; [unrolled: 1-line block ×7, first 2 shown]
	s_load_dwordx2 s[0:1], s[0:1], 0x80
	v_mov_b32_e32 v27, v1
	s_mov_b32 s6, 0xf0f0f0f1
	v_mov_b32_e32 v37, v1
	s_mov_b32 s7, 0xf0f0f0f0
	v_mov_b32_e32 v41, v1
	v_lshrrev_b32_e32 v0, 5, v0
	s_waitcnt vmcnt(7)
	v_mul_lo_u32 v36, v38, s17
	v_max3_f32 v26, |v28|, 0, |v29|
	v_max3_f32 v45, v26, |v30|, |v31|
	v_mul_lo_u32 v26, v39, s16
	v_mad_u64_u32 v[38:39], s[4:5], v38, s16, 0
	v_add3_u32 v39, v39, v36, v26
	s_waitcnt lgkmcnt(0)
	v_mad_u64_u32 v[38:39], s[4:5], s0, v40, v[38:39]
	v_mov_b32_e32 v26, v39
	v_mad_u64_u32 v[42:43], s[0:1], s1, v40, v[26:27]
	v_mov_b32_e32 v39, v42
	;; [unrolled: 2-line block ×3, first 2 shown]
	v_mul_hi_u32 v26, v38, s6
	v_mad_u64_u32 v[42:43], s[0:1], s19, v44, v[36:37]
	v_mad_u64_u32 v[26:27], s[0:1], v42, s6, v[26:27]
	v_mov_b32_e32 v36, v27
	v_mov_b32_e32 v27, v1
	v_mad_u64_u32 v[26:27], s[0:1], v38, s7, v[26:27]
	v_mov_b32_e32 v40, v27
	v_lshl_add_u64 v[26:27], v[36:37], 0, v[40:41]
	v_mad_u64_u32 v[26:27], s[0:1], v42, s7, v[26:27]
	v_alignbit_b32 v1, v27, v26, 5
	v_lshrrev_b32_e32 v37, 5, v27
	v_mad_u64_u32 v[26:27], s[0:1], v1, 34, s[2:3]
	s_waitcnt vmcnt(6)
	v_max3_f32 v1, v45, |v32|, |v33|
	v_max3_f32 v1, v1, |v34|, |v35|
	s_waitcnt vmcnt(5)
	v_max3_f32 v1, v1, |v18|, |v19|
	v_max3_f32 v1, v1, |v20|, |v21|
	;; [unrolled: 3-line block ×7, first 2 shown]
	s_mov_b32 s2, 0x42fe0000
	v_div_scale_f32 v38, s[0:1], s2, s2, v1
	v_rcp_f32_e32 v39, v38
	v_mov_b32_e32 v36, v27
	v_mad_u64_u32 v[36:37], s[0:1], v37, 34, v[36:37]
	v_mov_b32_e32 v27, v36
	v_fma_f32 v36, -v38, v39, 1.0
	v_fmac_f32_e32 v39, v36, v39
	v_div_scale_f32 v36, vcc, v1, s2, v1
	v_mul_f32_e32 v37, v36, v39
	v_fma_f32 v40, -v38, v37, v36
	v_fmac_f32_e32 v37, v40, v39
	v_fma_f32 v36, -v38, v37, v36
	v_div_fmas_f32 v36, v36, v39, v37
	v_div_fixup_f32 v36, v36, s2, v1
	v_div_scale_f32 v37, s[0:1], v36, v36, 1.0
	v_rcp_f32_e32 v38, v37
	v_mad_u64_u32 v[0:1], s[0:1], v0, 34, v[26:27]
	v_fma_f32 v26, -v37, v38, 1.0
	v_fmac_f32_e32 v38, v26, v38
	v_div_scale_f32 v26, vcc, 1.0, v36, 1.0
	v_mul_f32_e32 v27, v26, v38
	v_fma_f32 v39, -v37, v27, v26
	v_fmac_f32_e32 v27, v39, v38
	v_fma_f32 v26, -v37, v27, v26
	v_div_fmas_f32 v26, v26, v38, v27
	v_cvt_f16_f32_e32 v27, v36
	v_div_fixup_f32 v26, v26, v36, 1.0
	v_cmp_neq_f32_e32 vcc, 0, v36
	global_store_short v[0:1], v27, off
	s_nop 0
	v_cndmask_b32_e32 v26, 0, v26, vcc
	v_pk_mul_f32 v[30:31], v[30:31], v[26:27] op_sel_hi:[1,0]
	v_pk_mul_f32 v[32:33], v[32:33], v[26:27] op_sel_hi:[1,0]
	;; [unrolled: 1-line block ×4, first 2 shown]
	v_trunc_f32_e32 v27, v30
	v_sub_f32_e32 v36, v30, v27
	v_cmp_ge_f32_e64 s[0:1], |v36|, 0.5
	s_nop 1
	v_cndmask_b32_e64 v36, 0, 1.0, s[0:1]
	s_brev_b32 s0, -2
	v_bfi_b32 v30, s0, v36, v30
	v_add_f32_e32 v27, v27, v30
	v_trunc_f32_e32 v30, v31
	v_sub_f32_e32 v36, v31, v30
	v_cmp_ge_f32_e64 s[2:3], |v36|, 0.5
	v_cvt_i32_f32_e32 v27, v27
	s_movk_i32 s1, 0xff
	v_cndmask_b32_e64 v36, 0, 1.0, s[2:3]
	v_bfi_b32 v31, s0, v36, v31
	v_add_f32_e32 v30, v30, v31
	v_trunc_f32_e32 v31, v28
	v_sub_f32_e32 v36, v28, v31
	v_cmp_ge_f32_e64 s[2:3], |v36|, 0.5
	v_cvt_i32_f32_sdwa v30, v30 dst_sel:BYTE_1 dst_unused:UNUSED_PAD src0_sel:DWORD
	s_nop 0
	v_cndmask_b32_e64 v36, 0, 1.0, s[2:3]
	v_bfi_b32 v28, s0, v36, v28
	v_add_f32_e32 v28, v31, v28
	v_trunc_f32_e32 v31, v29
	v_sub_f32_e32 v36, v29, v31
	v_cmp_ge_f32_e64 s[2:3], |v36|, 0.5
	v_cvt_i32_f32_e32 v28, v28
	v_bitop3_b16 v27, v27, v30, s1 bitop3:0xec
	v_cndmask_b32_e64 v36, 0, 1.0, s[2:3]
	v_bfi_b32 v29, s0, v36, v29
	v_trunc_f32_e32 v36, v34
	v_sub_f32_e32 v37, v34, v36
	v_cmp_ge_f32_e64 s[2:3], |v37|, 0.5
	v_add_f32_e32 v29, v31, v29
	v_lshlrev_b32_e32 v27, 16, v27
	v_cndmask_b32_e64 v37, 0, 1.0, s[2:3]
	v_bfi_b32 v34, s0, v37, v34
	v_add_f32_e32 v34, v36, v34
	v_trunc_f32_e32 v36, v35
	v_sub_f32_e32 v37, v35, v36
	v_cmp_ge_f32_e64 s[2:3], |v37|, 0.5
	v_pk_mul_f32 v[20:21], v[20:21], v[26:27] op_sel_hi:[1,0]
	v_pk_mul_f32 v[22:23], v[22:23], v[26:27] op_sel_hi:[1,0]
	v_cndmask_b32_e64 v37, 0, 1.0, s[2:3]
	v_bfi_b32 v35, s0, v37, v35
	v_add_f32_e32 v35, v36, v35
	v_trunc_f32_e32 v36, v32
	v_sub_f32_e32 v37, v32, v36
	v_cmp_ge_f32_e64 s[2:3], |v37|, 0.5
	v_pk_mul_f32 v[24:25], v[24:25], v[26:27] op_sel_hi:[1,0]
	v_pk_mul_f32 v[18:19], v[18:19], v[26:27] op_sel_hi:[1,0]
	v_cndmask_b32_e64 v37, 0, 1.0, s[2:3]
	v_bfi_b32 v32, s0, v37, v32
	v_add_f32_e32 v32, v36, v32
	v_trunc_f32_e32 v36, v33
	v_sub_f32_e32 v37, v33, v36
	v_cmp_ge_f32_e64 s[2:3], |v37|, 0.5
	v_cvt_i32_f32_e32 v32, v32
	v_cvt_i32_f32_sdwa v35, v35 dst_sel:BYTE_1 dst_unused:UNUSED_PAD src0_sel:DWORD
	v_cndmask_b32_e64 v37, 0, 1.0, s[2:3]
	v_bfi_b32 v33, s0, v37, v33
	v_add_f32_e32 v33, v36, v33
	v_cvt_i32_f32_sdwa v33, v33 dst_sel:BYTE_1 dst_unused:UNUSED_PAD src0_sel:DWORD
	v_cvt_i32_f32_e32 v34, v34
	v_bitop3_b16 v31, v32, v33, s1 bitop3:0xec
	v_cvt_i32_f32_sdwa v33, v29 dst_sel:BYTE_1 dst_unused:UNUSED_PAD src0_sel:DWORD
	v_bitop3_b16 v32, v34, v35, s1 bitop3:0xec
	v_lshlrev_b32_e32 v29, 16, v32
	v_or_b32_sdwa v29, v31, v29 dst_sel:DWORD dst_unused:UNUSED_PAD src0_sel:WORD_0 src1_sel:DWORD
	v_bitop3_b16 v28, v28, v33, s1 bitop3:0xec
	v_or_b32_sdwa v28, v28, v27 dst_sel:DWORD dst_unused:UNUSED_PAD src0_sel:WORD_0 src1_sel:DWORD
	v_trunc_f32_e32 v27, v20
	v_sub_f32_e32 v30, v20, v27
	v_cmp_ge_f32_e64 s[2:3], |v30|, 0.5
	v_trunc_f32_e32 v31, v24
	v_sub_f32_e32 v32, v24, v31
	v_cndmask_b32_e64 v30, 0, 1.0, s[2:3]
	v_bfi_b32 v20, s0, v30, v20
	v_add_f32_e32 v20, v27, v20
	v_trunc_f32_e32 v27, v21
	v_sub_f32_e32 v30, v21, v27
	v_cmp_ge_f32_e64 s[2:3], |v30|, 0.5
	v_cvt_i32_f32_e32 v20, v20
	s_nop 0
	v_cndmask_b32_e64 v30, 0, 1.0, s[2:3]
	v_bfi_b32 v21, s0, v30, v21
	v_add_f32_e32 v21, v27, v21
	v_trunc_f32_e32 v27, v18
	v_sub_f32_e32 v30, v18, v27
	v_cmp_ge_f32_e64 s[2:3], |v30|, 0.5
	v_cvt_i32_f32_sdwa v21, v21 dst_sel:BYTE_1 dst_unused:UNUSED_PAD src0_sel:DWORD
	s_nop 0
	v_cndmask_b32_e64 v30, 0, 1.0, s[2:3]
	v_bfi_b32 v18, s0, v30, v18
	v_add_f32_e32 v18, v27, v18
	v_trunc_f32_e32 v27, v19
	v_sub_f32_e32 v30, v19, v27
	v_cmp_ge_f32_e64 s[2:3], |v30|, 0.5
	v_cvt_i32_f32_e32 v18, v18
	v_pk_mul_f32 v[12:13], v[12:13], v[26:27] op_sel_hi:[1,0]
	v_cndmask_b32_e64 v30, 0, 1.0, s[2:3]
	v_cmp_ge_f32_e64 s[2:3], |v32|, 0.5
	v_bfi_b32 v19, s0, v30, v19
	v_add_f32_e32 v19, v27, v19
	v_cndmask_b32_e64 v32, 0, 1.0, s[2:3]
	v_bfi_b32 v24, s0, v32, v24
	v_add_f32_e32 v24, v31, v24
	v_trunc_f32_e32 v31, v25
	v_sub_f32_e32 v32, v25, v31
	v_cmp_ge_f32_e64 s[2:3], |v32|, 0.5
	v_cvt_i32_f32_sdwa v19, v19 dst_sel:BYTE_1 dst_unused:UNUSED_PAD src0_sel:DWORD
	v_pk_mul_f32 v[10:11], v[10:11], v[26:27] op_sel_hi:[1,0]
	v_cndmask_b32_e64 v32, 0, 1.0, s[2:3]
	v_bfi_b32 v25, s0, v32, v25
	v_add_f32_e32 v25, v31, v25
	v_trunc_f32_e32 v31, v22
	v_sub_f32_e32 v32, v22, v31
	v_cmp_ge_f32_e64 s[2:3], |v32|, 0.5
	v_bitop3_b16 v18, v18, v19, s1 bitop3:0xec
	v_bitop3_b16 v19, v20, v21, s1 bitop3:0xec
	v_cndmask_b32_e64 v32, 0, 1.0, s[2:3]
	v_bfi_b32 v22, s0, v32, v22
	v_add_f32_e32 v22, v31, v22
	v_trunc_f32_e32 v31, v23
	v_lshlrev_b32_e32 v19, 16, v19
	v_sub_f32_e32 v32, v23, v31
	v_or_b32_sdwa v30, v18, v19 dst_sel:DWORD dst_unused:UNUSED_PAD src0_sel:WORD_0 src1_sel:DWORD
	v_trunc_f32_e32 v18, v12
	v_cmp_ge_f32_e64 s[2:3], |v32|, 0.5
	v_sub_f32_e32 v19, v12, v18
	v_pk_mul_f32 v[16:17], v[16:17], v[26:27] op_sel_hi:[1,0]
	v_cndmask_b32_e64 v32, 0, 1.0, s[2:3]
	v_cmp_ge_f32_e64 s[2:3], |v19|, 0.5
	v_trunc_f32_e32 v20, v16
	v_sub_f32_e32 v21, v16, v20
	v_cndmask_b32_e64 v19, 0, 1.0, s[2:3]
	v_bfi_b32 v12, s0, v19, v12
	v_add_f32_e32 v12, v18, v12
	v_trunc_f32_e32 v18, v13
	v_sub_f32_e32 v19, v13, v18
	v_cmp_ge_f32_e64 s[2:3], |v19|, 0.5
	v_pk_mul_f32 v[14:15], v[14:15], v[26:27] op_sel_hi:[1,0]
	v_cvt_i32_f32_e32 v12, v12
	v_cndmask_b32_e64 v19, 0, 1.0, s[2:3]
	v_bfi_b32 v13, s0, v19, v13
	v_add_f32_e32 v13, v18, v13
	v_trunc_f32_e32 v18, v10
	v_sub_f32_e32 v19, v10, v18
	v_cmp_ge_f32_e64 s[2:3], |v19|, 0.5
	v_cvt_i32_f32_sdwa v13, v13 dst_sel:BYTE_1 dst_unused:UNUSED_PAD src0_sel:DWORD
	v_pk_mul_f32 v[4:5], v[4:5], v[26:27] op_sel_hi:[1,0]
	v_cndmask_b32_e64 v19, 0, 1.0, s[2:3]
	v_bfi_b32 v10, s0, v19, v10
	v_add_f32_e32 v10, v18, v10
	v_trunc_f32_e32 v18, v11
	v_sub_f32_e32 v19, v11, v18
	v_cmp_ge_f32_e64 s[2:3], |v19|, 0.5
	v_cvt_i32_f32_e32 v10, v10
	v_bitop3_b16 v12, v12, v13, s1 bitop3:0xec
	v_cndmask_b32_e64 v19, 0, 1.0, s[2:3]
	v_cmp_ge_f32_e64 s[2:3], |v21|, 0.5
	v_bfi_b32 v11, s0, v19, v11
	v_add_f32_e32 v11, v18, v11
	v_cndmask_b32_e64 v21, 0, 1.0, s[2:3]
	v_bfi_b32 v16, s0, v21, v16
	v_add_f32_e32 v16, v20, v16
	v_trunc_f32_e32 v20, v17
	v_sub_f32_e32 v21, v17, v20
	v_cmp_ge_f32_e64 s[2:3], |v21|, 0.5
	v_cvt_i32_f32_e32 v16, v16
	v_lshlrev_b32_e32 v12, 16, v12
	v_cndmask_b32_e64 v21, 0, 1.0, s[2:3]
	v_bfi_b32 v17, s0, v21, v17
	v_add_f32_e32 v17, v20, v17
	v_trunc_f32_e32 v20, v14
	v_sub_f32_e32 v21, v14, v20
	v_cmp_ge_f32_e64 s[2:3], |v21|, 0.5
	v_cvt_i32_f32_sdwa v17, v17 dst_sel:BYTE_1 dst_unused:UNUSED_PAD src0_sel:DWORD
	v_pk_mul_f32 v[2:3], v[2:3], v[26:27] op_sel_hi:[1,0]
	v_cndmask_b32_e64 v21, 0, 1.0, s[2:3]
	v_bfi_b32 v14, s0, v21, v14
	v_add_f32_e32 v14, v20, v14
	v_trunc_f32_e32 v20, v15
	v_sub_f32_e32 v21, v15, v20
	v_cmp_ge_f32_e64 s[2:3], |v21|, 0.5
	v_cvt_i32_f32_e32 v14, v14
	v_pk_mul_f32 v[8:9], v[8:9], v[26:27] op_sel_hi:[1,0]
	v_cndmask_b32_e64 v21, 0, 1.0, s[2:3]
	v_bfi_b32 v15, s0, v21, v15
	v_add_f32_e32 v15, v20, v15
	v_cvt_i32_f32_sdwa v15, v15 dst_sel:BYTE_1 dst_unused:UNUSED_PAD src0_sel:DWORD
	v_pk_mul_f32 v[6:7], v[6:7], v[26:27] op_sel_hi:[1,0]
	v_bfi_b32 v23, s0, v32, v23
	v_add_f32_e32 v23, v31, v23
	v_bitop3_b16 v14, v14, v15, s1 bitop3:0xec
	v_bitop3_b16 v15, v16, v17, s1 bitop3:0xec
	v_cvt_i32_f32_sdwa v16, v11 dst_sel:BYTE_1 dst_unused:UNUSED_PAD src0_sel:DWORD
	v_lshlrev_b32_e32 v11, 16, v15
	v_or_b32_sdwa v11, v14, v11 dst_sel:DWORD dst_unused:UNUSED_PAD src0_sel:WORD_0 src1_sel:DWORD
	v_trunc_f32_e32 v14, v8
	v_bitop3_b16 v10, v10, v16, s1 bitop3:0xec
	v_or_b32_sdwa v10, v10, v12 dst_sel:DWORD dst_unused:UNUSED_PAD src0_sel:WORD_0 src1_sel:DWORD
	v_trunc_f32_e32 v12, v4
	v_sub_f32_e32 v13, v4, v12
	v_cmp_ge_f32_e64 s[2:3], |v13|, 0.5
	v_sub_f32_e32 v15, v8, v14
	v_cvt_i32_f32_sdwa v23, v23 dst_sel:BYTE_1 dst_unused:UNUSED_PAD src0_sel:DWORD
	v_cndmask_b32_e64 v13, 0, 1.0, s[2:3]
	v_bfi_b32 v4, s0, v13, v4
	v_add_f32_e32 v4, v12, v4
	v_trunc_f32_e32 v12, v5
	v_sub_f32_e32 v13, v5, v12
	v_cmp_ge_f32_e64 s[2:3], |v13|, 0.5
	v_cvt_i32_f32_e32 v22, v22
	v_cvt_i32_f32_sdwa v25, v25 dst_sel:BYTE_1 dst_unused:UNUSED_PAD src0_sel:DWORD
	v_cndmask_b32_e64 v13, 0, 1.0, s[2:3]
	v_bfi_b32 v5, s0, v13, v5
	v_add_f32_e32 v5, v12, v5
	v_trunc_f32_e32 v12, v2
	v_sub_f32_e32 v13, v2, v12
	v_cmp_ge_f32_e64 s[2:3], |v13|, 0.5
	v_cvt_i32_f32_e32 v24, v24
	;; [unrolled: 8-line block ×3, first 2 shown]
	v_cvt_i32_f32_e32 v4, v4
	v_cndmask_b32_e64 v13, 0, 1.0, s[2:3]
	v_cmp_ge_f32_e64 s[2:3], |v15|, 0.5
	v_bfi_b32 v3, s0, v13, v3
	v_add_f32_e32 v3, v12, v3
	v_cndmask_b32_e64 v15, 0, 1.0, s[2:3]
	v_bfi_b32 v8, s0, v15, v8
	v_add_f32_e32 v8, v14, v8
	v_trunc_f32_e32 v14, v9
	v_sub_f32_e32 v15, v9, v14
	v_cmp_ge_f32_e64 s[2:3], |v15|, 0.5
	v_cvt_i32_f32_e32 v8, v8
	v_cvt_i32_f32_sdwa v3, v3 dst_sel:BYTE_1 dst_unused:UNUSED_PAD src0_sel:DWORD
	v_cndmask_b32_e64 v15, 0, 1.0, s[2:3]
	v_bfi_b32 v9, s0, v15, v9
	v_add_f32_e32 v9, v14, v9
	v_trunc_f32_e32 v14, v6
	v_sub_f32_e32 v15, v6, v14
	v_cmp_ge_f32_e64 s[2:3], |v15|, 0.5
	v_cvt_i32_f32_sdwa v9, v9 dst_sel:BYTE_1 dst_unused:UNUSED_PAD src0_sel:DWORD
	v_bitop3_b16 v22, v22, v23, s1 bitop3:0xec
	v_cndmask_b32_e64 v15, 0, 1.0, s[2:3]
	v_bfi_b32 v6, s0, v15, v6
	v_add_f32_e32 v6, v14, v6
	v_trunc_f32_e32 v14, v7
	v_sub_f32_e32 v15, v7, v14
	v_cmp_ge_f32_e64 s[2:3], |v15|, 0.5
	v_cvt_i32_f32_e32 v6, v6
	v_bitop3_b16 v23, v24, v25, s1 bitop3:0xec
	v_cndmask_b32_e64 v15, 0, 1.0, s[2:3]
	v_bfi_b32 v7, s0, v15, v7
	v_add_f32_e32 v7, v14, v7
	v_cvt_i32_f32_sdwa v7, v7 dst_sel:BYTE_1 dst_unused:UNUSED_PAD src0_sel:DWORD
	v_bitop3_b16 v2, v2, v3, s1 bitop3:0xec
	v_bitop3_b16 v3, v4, v5, s1 bitop3:0xec
	v_lshlrev_b32_e32 v23, 16, v23
	v_bitop3_b16 v6, v6, v7, s1 bitop3:0xec
	v_bitop3_b16 v7, v8, v9, s1 bitop3:0xec
	v_lshlrev_b32_e32 v7, 16, v7
	v_lshlrev_b32_e32 v3, 16, v3
	v_or_b32_sdwa v31, v22, v23 dst_sel:DWORD dst_unused:UNUSED_PAD src0_sel:WORD_0 src1_sel:DWORD
	v_or_b32_sdwa v13, v6, v7 dst_sel:DWORD dst_unused:UNUSED_PAD src0_sel:WORD_0 src1_sel:DWORD
	;; [unrolled: 1-line block ×3, first 2 shown]
	global_store_dwordx4 v[0:1], v[28:31], off offset:2
	global_store_dwordx4 v[0:1], v[10:13], off offset:18
.LBB7_2:
	s_endpgm
	.section	.rodata,"a",@progbits
	.p2align	6, 0x0
	.amdhsa_kernel _ZL16k_set_rows_quantIl10block_q8_0Li32ETnPFvPKfPT0_EXadL_ZL23quantize_f32_q8_0_blockS2_PS0_EEEvS2_PKT_S4_llllllllllllll15HIP_vector_typeIjLj3EESC_SC_SC_SC_
		.amdhsa_group_segment_fixed_size 0
		.amdhsa_private_segment_fixed_size 0
		.amdhsa_kernarg_size 456
		.amdhsa_user_sgpr_count 2
		.amdhsa_user_sgpr_dispatch_ptr 0
		.amdhsa_user_sgpr_queue_ptr 0
		.amdhsa_user_sgpr_kernarg_segment_ptr 1
		.amdhsa_user_sgpr_dispatch_id 0
		.amdhsa_user_sgpr_kernarg_preload_length 0
		.amdhsa_user_sgpr_kernarg_preload_offset 0
		.amdhsa_user_sgpr_private_segment_size 0
		.amdhsa_uses_dynamic_stack 0
		.amdhsa_enable_private_segment 0
		.amdhsa_system_sgpr_workgroup_id_x 1
		.amdhsa_system_sgpr_workgroup_id_y 0
		.amdhsa_system_sgpr_workgroup_id_z 0
		.amdhsa_system_sgpr_workgroup_info 0
		.amdhsa_system_vgpr_workitem_id 0
		.amdhsa_next_free_vgpr 46
		.amdhsa_next_free_sgpr 40
		.amdhsa_accum_offset 48
		.amdhsa_reserve_vcc 1
		.amdhsa_float_round_mode_32 0
		.amdhsa_float_round_mode_16_64 0
		.amdhsa_float_denorm_mode_32 3
		.amdhsa_float_denorm_mode_16_64 3
		.amdhsa_dx10_clamp 1
		.amdhsa_ieee_mode 1
		.amdhsa_fp16_overflow 0
		.amdhsa_tg_split 0
		.amdhsa_exception_fp_ieee_invalid_op 0
		.amdhsa_exception_fp_denorm_src 0
		.amdhsa_exception_fp_ieee_div_zero 0
		.amdhsa_exception_fp_ieee_overflow 0
		.amdhsa_exception_fp_ieee_underflow 0
		.amdhsa_exception_fp_ieee_inexact 0
		.amdhsa_exception_int_div_zero 0
	.end_amdhsa_kernel
	.section	.text._ZL16k_set_rows_quantIl10block_q8_0Li32ETnPFvPKfPT0_EXadL_ZL23quantize_f32_q8_0_blockS2_PS0_EEEvS2_PKT_S4_llllllllllllll15HIP_vector_typeIjLj3EESC_SC_SC_SC_,"axG",@progbits,_ZL16k_set_rows_quantIl10block_q8_0Li32ETnPFvPKfPT0_EXadL_ZL23quantize_f32_q8_0_blockS2_PS0_EEEvS2_PKT_S4_llllllllllllll15HIP_vector_typeIjLj3EESC_SC_SC_SC_,comdat
.Lfunc_end7:
	.size	_ZL16k_set_rows_quantIl10block_q8_0Li32ETnPFvPKfPT0_EXadL_ZL23quantize_f32_q8_0_blockS2_PS0_EEEvS2_PKT_S4_llllllllllllll15HIP_vector_typeIjLj3EESC_SC_SC_SC_, .Lfunc_end7-_ZL16k_set_rows_quantIl10block_q8_0Li32ETnPFvPKfPT0_EXadL_ZL23quantize_f32_q8_0_blockS2_PS0_EEEvS2_PKT_S4_llllllllllllll15HIP_vector_typeIjLj3EESC_SC_SC_SC_
                                        ; -- End function
	.set _ZL16k_set_rows_quantIl10block_q8_0Li32ETnPFvPKfPT0_EXadL_ZL23quantize_f32_q8_0_blockS2_PS0_EEEvS2_PKT_S4_llllllllllllll15HIP_vector_typeIjLj3EESC_SC_SC_SC_.num_vgpr, 46
	.set _ZL16k_set_rows_quantIl10block_q8_0Li32ETnPFvPKfPT0_EXadL_ZL23quantize_f32_q8_0_blockS2_PS0_EEEvS2_PKT_S4_llllllllllllll15HIP_vector_typeIjLj3EESC_SC_SC_SC_.num_agpr, 0
	.set _ZL16k_set_rows_quantIl10block_q8_0Li32ETnPFvPKfPT0_EXadL_ZL23quantize_f32_q8_0_blockS2_PS0_EEEvS2_PKT_S4_llllllllllllll15HIP_vector_typeIjLj3EESC_SC_SC_SC_.numbered_sgpr, 40
	.set _ZL16k_set_rows_quantIl10block_q8_0Li32ETnPFvPKfPT0_EXadL_ZL23quantize_f32_q8_0_blockS2_PS0_EEEvS2_PKT_S4_llllllllllllll15HIP_vector_typeIjLj3EESC_SC_SC_SC_.num_named_barrier, 0
	.set _ZL16k_set_rows_quantIl10block_q8_0Li32ETnPFvPKfPT0_EXadL_ZL23quantize_f32_q8_0_blockS2_PS0_EEEvS2_PKT_S4_llllllllllllll15HIP_vector_typeIjLj3EESC_SC_SC_SC_.private_seg_size, 0
	.set _ZL16k_set_rows_quantIl10block_q8_0Li32ETnPFvPKfPT0_EXadL_ZL23quantize_f32_q8_0_blockS2_PS0_EEEvS2_PKT_S4_llllllllllllll15HIP_vector_typeIjLj3EESC_SC_SC_SC_.uses_vcc, 1
	.set _ZL16k_set_rows_quantIl10block_q8_0Li32ETnPFvPKfPT0_EXadL_ZL23quantize_f32_q8_0_blockS2_PS0_EEEvS2_PKT_S4_llllllllllllll15HIP_vector_typeIjLj3EESC_SC_SC_SC_.uses_flat_scratch, 0
	.set _ZL16k_set_rows_quantIl10block_q8_0Li32ETnPFvPKfPT0_EXadL_ZL23quantize_f32_q8_0_blockS2_PS0_EEEvS2_PKT_S4_llllllllllllll15HIP_vector_typeIjLj3EESC_SC_SC_SC_.has_dyn_sized_stack, 0
	.set _ZL16k_set_rows_quantIl10block_q8_0Li32ETnPFvPKfPT0_EXadL_ZL23quantize_f32_q8_0_blockS2_PS0_EEEvS2_PKT_S4_llllllllllllll15HIP_vector_typeIjLj3EESC_SC_SC_SC_.has_recursion, 0
	.set _ZL16k_set_rows_quantIl10block_q8_0Li32ETnPFvPKfPT0_EXadL_ZL23quantize_f32_q8_0_blockS2_PS0_EEEvS2_PKT_S4_llllllllllllll15HIP_vector_typeIjLj3EESC_SC_SC_SC_.has_indirect_call, 0
	.section	.AMDGPU.csdata,"",@progbits
; Kernel info:
; codeLenInByte = 2824
; TotalNumSgprs: 46
; NumVgprs: 46
; NumAgprs: 0
; TotalNumVgprs: 46
; ScratchSize: 0
; MemoryBound: 0
; FloatMode: 240
; IeeeMode: 1
; LDSByteSize: 0 bytes/workgroup (compile time only)
; SGPRBlocks: 5
; VGPRBlocks: 5
; NumSGPRsForWavesPerEU: 46
; NumVGPRsForWavesPerEU: 46
; AccumOffset: 48
; Occupancy: 8
; WaveLimiterHint : 1
; COMPUTE_PGM_RSRC2:SCRATCH_EN: 0
; COMPUTE_PGM_RSRC2:USER_SGPR: 2
; COMPUTE_PGM_RSRC2:TRAP_HANDLER: 0
; COMPUTE_PGM_RSRC2:TGID_X_EN: 1
; COMPUTE_PGM_RSRC2:TGID_Y_EN: 0
; COMPUTE_PGM_RSRC2:TGID_Z_EN: 0
; COMPUTE_PGM_RSRC2:TIDIG_COMP_CNT: 0
; COMPUTE_PGM_RSRC3_GFX90A:ACCUM_OFFSET: 11
; COMPUTE_PGM_RSRC3_GFX90A:TG_SPLIT: 0
	.section	.text._ZL16k_set_rows_quantIl12block_iq4_nlLi32ETnPFvPKfPT0_EXadL_ZL25quantize_f32_iq4_nl_blockS2_PS0_EEEvS2_PKT_S4_llllllllllllll15HIP_vector_typeIjLj3EESC_SC_SC_SC_,"axG",@progbits,_ZL16k_set_rows_quantIl12block_iq4_nlLi32ETnPFvPKfPT0_EXadL_ZL25quantize_f32_iq4_nl_blockS2_PS0_EEEvS2_PKT_S4_llllllllllllll15HIP_vector_typeIjLj3EESC_SC_SC_SC_,comdat
	.globl	_ZL16k_set_rows_quantIl12block_iq4_nlLi32ETnPFvPKfPT0_EXadL_ZL25quantize_f32_iq4_nl_blockS2_PS0_EEEvS2_PKT_S4_llllllllllllll15HIP_vector_typeIjLj3EESC_SC_SC_SC_ ; -- Begin function _ZL16k_set_rows_quantIl12block_iq4_nlLi32ETnPFvPKfPT0_EXadL_ZL25quantize_f32_iq4_nl_blockS2_PS0_EEEvS2_PKT_S4_llllllllllllll15HIP_vector_typeIjLj3EESC_SC_SC_SC_
	.p2align	8
	.type	_ZL16k_set_rows_quantIl12block_iq4_nlLi32ETnPFvPKfPT0_EXadL_ZL25quantize_f32_iq4_nl_blockS2_PS0_EEEvS2_PKT_S4_llllllllllllll15HIP_vector_typeIjLj3EESC_SC_SC_SC_,@function
_ZL16k_set_rows_quantIl12block_iq4_nlLi32ETnPFvPKfPT0_EXadL_ZL25quantize_f32_iq4_nl_blockS2_PS0_EEEvS2_PKT_S4_llllllllllllll15HIP_vector_typeIjLj3EESC_SC_SC_SC_: ; @_ZL16k_set_rows_quantIl12block_iq4_nlLi32ETnPFvPKfPT0_EXadL_ZL25quantize_f32_iq4_nl_blockS2_PS0_EEEvS2_PKT_S4_llllllllllllll15HIP_vector_typeIjLj3EESC_SC_SC_SC_
; %bb.0:
	s_load_dword s3, s[0:1], 0xd4
	s_load_dwordx2 s[4:5], s[0:1], 0x18
	v_mov_b32_e32 v4, 0
	v_mov_b32_e32 v1, v4
	;; [unrolled: 1-line block ×3, first 2 shown]
	s_waitcnt lgkmcnt(0)
	s_and_b32 s3, s3, 0xffff
	v_mad_u64_u32 v[0:1], s[2:3], s3, v2, v[0:1]
	v_cmp_gt_i64_e32 vcc, s[4:5], v[0:1]
	s_and_saveexec_b64 s[2:3], vcc
	s_cbranch_execz .LBB8_16
; %bb.1:
	s_load_dwordx4 s[28:31], s[0:1], 0x0
	s_load_dwordx2 s[2:3], s[0:1], 0x10
	s_load_dwordx16 s[4:19], s[0:1], 0x40
	s_load_dwordx8 s[20:27], s[0:1], 0x88
	s_load_dword s33, s[0:1], 0xc0
	s_load_dwordx2 s[34:35], s[0:1], 0xb8
	s_load_dwordx4 s[36:39], s[0:1], 0xa8
	v_lshlrev_b32_e32 v5, 5, v0
	s_waitcnt lgkmcnt(0)
	v_mul_hi_u32 v0, s20, v5
	v_add_u32_e32 v0, v5, v0
	v_lshrrev_b32_e32 v8, s21, v0
	v_mul_hi_u32 v0, v8, s23
	v_add_u32_e32 v0, v8, v0
	v_lshrrev_b32_e32 v0, s24, v0
	v_mul_lo_u32 v1, v0, s25
	v_sub_u32_e32 v12, v8, v1
	v_mul_hi_u32 v1, v0, s26
	v_add_u32_e32 v1, v0, v1
	v_lshrrev_b32_e32 v42, s27, v1
	v_mul_lo_u32 v1, v42, s36
	v_sub_u32_e32 v44, v0, v1
	;; [unrolled: 5-line block ×4, first 2 shown]
	v_mad_u64_u32 v[0:1], s[20:21], s10, v12, 0
	v_mov_b32_e32 v2, v1
	v_mad_u64_u32 v[2:3], s[10:11], s11, v12, v[2:3]
	v_mov_b32_e32 v1, v2
	;; [unrolled: 2-line block ×3, first 2 shown]
	v_mad_u64_u32 v[6:7], s[10:11], s13, v7, v[6:7]
	v_lshl_add_u64 v[0:1], v[0:1], 3, s[30:31]
	v_mov_b32_e32 v3, v6
	v_lshl_add_u64 v[0:1], v[2:3], 3, v[0:1]
	v_mad_u64_u32 v[2:3], s[10:11], s14, v9, 0
	v_mov_b32_e32 v6, v3
	v_mad_u64_u32 v[6:7], s[10:11], s15, v9, v[6:7]
	v_mov_b32_e32 v3, v6
	v_lshl_add_u64 v[0:1], v[2:3], 3, v[0:1]
	global_load_dwordx2 v[10:11], v[0:1], off
	v_mul_lo_u32 v0, v8, s22
	v_sub_u32_e32 v8, v5, v0
	v_mad_u64_u32 v[0:1], s[10:11], s4, v12, 0
	v_mov_b32_e32 v2, v1
	v_mad_u64_u32 v[2:3], s[4:5], s5, v12, v[2:3]
	v_mov_b32_e32 v1, v2
	;; [unrolled: 2-line block ×3, first 2 shown]
	v_mad_u64_u32 v[6:7], s[4:5], s7, v44, v[6:7]
	v_lshl_add_u64 v[0:1], v[0:1], 2, s[28:29]
	v_mov_b32_e32 v3, v6
	v_lshl_add_u64 v[0:1], v[2:3], 2, v[0:1]
	v_mad_u64_u32 v[2:3], s[4:5], s8, v42, 0
	v_mov_b32_e32 v6, v3
	v_mad_u64_u32 v[6:7], s[4:5], s9, v42, v[6:7]
	v_mov_b32_e32 v3, v6
	v_mov_b32_e32 v9, v4
	v_lshl_add_u64 v[0:1], v[2:3], 2, v[0:1]
	v_lshl_add_u64 v[6:7], v[8:9], 2, v[0:1]
	global_load_dwordx4 v[12:15], v[6:7], off
	global_load_dwordx4 v[16:19], v[6:7], off offset:16
	global_load_dwordx4 v[20:23], v[6:7], off offset:32
	;; [unrolled: 1-line block ×7, first 2 shown]
	s_load_dwordx2 s[4:5], s[0:1], 0x80
	v_mov_b32_e32 v41, v4
	s_mov_b32 s0, 0x8e38e38f
	v_mov_b32_e32 v43, v4
	s_mov_b32 s8, 0xe38e38e3
	;; [unrolled: 2-line block ×3, first 2 shown]
	s_mov_b32 s1, 0
	s_mov_b32 s11, 0x42e20000
	s_waitcnt vmcnt(8)
	v_mul_lo_u32 v5, v11, s16
	v_mul_lo_u32 v9, v10, s17
	v_mad_u64_u32 v[10:11], s[6:7], v10, s16, 0
	v_add3_u32 v11, v11, v9, v5
	s_waitcnt lgkmcnt(0)
	v_mad_u64_u32 v[10:11], s[6:7], s4, v42, v[10:11]
	v_mov_b32_e32 v40, v11
	v_mad_u64_u32 v[46:47], s[4:5], s5, v42, v[40:41]
	v_mov_b32_e32 v11, v46
	v_mad_u64_u32 v[10:11], s[4:5], s18, v44, v[10:11]
	v_mov_b32_e32 v42, v11
	v_mul_hi_u32 v40, v10, s0
	v_mad_u64_u32 v[46:47], s[4:5], s19, v44, v[42:43]
	v_mad_u64_u32 v[40:41], s[4:5], v46, s0, v[40:41]
	v_mov_b32_e32 v42, v41
	v_mov_b32_e32 v41, v4
	v_mad_u64_u32 v[10:11], s[4:5], v10, s8, v[40:41]
	v_mov_b32_e32 v44, v11
	v_lshl_add_u64 v[10:11], v[42:43], 0, v[44:45]
	v_mad_u64_u32 v[10:11], s[4:5], v46, s8, v[10:11]
	v_alignbit_b32 v5, v11, v10, 4
	v_lshrrev_b32_e32 v9, 4, v11
	v_mad_u64_u32 v[10:11], s[2:3], v5, 18, s[2:3]
	s_waitcnt vmcnt(7)
	v_cmp_lg_f32_e32 vcc, 0, v12
	v_mov_b32_e32 v40, v11
	s_mov_b32 s0, s1
	v_cndmask_b32_e64 v11, 0, |v12|, vcc
	v_cndmask_b32_e32 v5, 0, v12, vcc
	v_cmp_lt_f32_e64 vcc, v11, |v13|
	s_nop 1
	v_cndmask_b32_e64 v11, v11, |v13|, vcc
	v_cndmask_b32_e32 v5, v5, v13, vcc
	v_cmp_lt_f32_e64 vcc, v11, |v14|
	s_nop 1
	v_cndmask_b32_e64 v11, v11, |v14|, vcc
	v_cndmask_b32_e32 v5, v5, v14, vcc
	v_cmp_lt_f32_e64 vcc, v11, |v15|
	s_nop 1
	v_cndmask_b32_e64 v11, v11, |v15|, vcc
	v_cndmask_b32_e32 v5, v5, v15, vcc
	s_waitcnt vmcnt(6)
	v_cmp_lt_f32_e64 vcc, v11, |v16|
	s_nop 1
	v_cndmask_b32_e64 v11, v11, |v16|, vcc
	v_cndmask_b32_e32 v5, v5, v16, vcc
	v_cmp_lt_f32_e64 vcc, v11, |v17|
	s_nop 1
	v_cndmask_b32_e64 v11, v11, |v17|, vcc
	v_cndmask_b32_e32 v5, v5, v17, vcc
	v_cmp_lt_f32_e64 vcc, v11, |v18|
	s_nop 1
	v_cndmask_b32_e64 v11, v11, |v18|, vcc
	v_cndmask_b32_e32 v5, v5, v18, vcc
	v_cmp_lt_f32_e64 vcc, v11, |v19|
	s_nop 1
	v_cndmask_b32_e64 v11, v11, |v19|, vcc
	v_cndmask_b32_e32 v5, v5, v19, vcc
	s_waitcnt vmcnt(5)
	v_cmp_lt_f32_e64 vcc, v11, |v20|
	s_nop 1
	;; [unrolled: 17-line block ×3, first 2 shown]
	v_cndmask_b32_e32 v5, v5, v0, vcc
	v_cndmask_b32_e64 v0, v11, |v0|, vcc
	v_cmp_lt_f32_e64 vcc, v0, |v1|
	s_nop 1
	v_cndmask_b32_e64 v0, v0, |v1|, vcc
	v_cndmask_b32_e32 v5, v5, v1, vcc
	v_cmp_lt_f32_e64 vcc, v0, |v2|
	s_nop 1
	v_cndmask_b32_e64 v0, v0, |v2|, vcc
	v_cndmask_b32_e32 v1, v5, v2, vcc
	;; [unrolled: 4-line block ×3, first 2 shown]
	s_waitcnt vmcnt(0)
	v_cmp_lt_f32_e64 vcc, v0, |v36|
	s_nop 1
	v_cndmask_b32_e64 v0, v0, |v36|, vcc
	v_cndmask_b32_e32 v1, v1, v36, vcc
	v_cmp_lt_f32_e64 vcc, v0, |v37|
	s_nop 1
	v_cndmask_b32_e64 v0, v0, |v37|, vcc
	v_cndmask_b32_e32 v1, v1, v37, vcc
	;; [unrolled: 4-line block ×15, first 2 shown]
	v_cmp_lt_f32_e64 vcc, v0, |v27|
	s_nop 1
	v_cndmask_b32_e32 v2, v1, v27, vcc
	v_div_scale_f32 v3, s[2:3], s10, s10, v2
	v_rcp_f32_e32 v5, v3
	v_mad_u64_u32 v[0:1], s[2:3], v9, 18, v[40:41]
	v_mov_b32_e32 v11, v0
	v_fma_f32 v0, -v3, v5, 1.0
	v_fmac_f32_e32 v5, v0, v5
	v_div_scale_f32 v0, vcc, v2, s10, v2
	v_mul_f32_e32 v1, v0, v5
	v_fma_f32 v9, -v3, v1, v0
	v_fmac_f32_e32 v1, v9, v5
	v_fma_f32 v0, -v3, v1, v0
	v_div_fmas_f32 v0, v0, v5, v1
	v_div_fixup_f32 v12, v0, s10, v2
	v_div_scale_f32 v2, s[2:3], v12, v12, 1.0
	v_rcp_f32_e32 v3, v2
	v_lshrrev_b32_e32 v0, 5, v8
	v_mad_u64_u32 v[0:1], s[2:3], v0, 18, v[10:11]
	v_fma_f32 v5, -v2, v3, 1.0
	v_fmac_f32_e32 v3, v5, v3
	v_div_scale_f32 v5, vcc, 1.0, v12, 1.0
	v_mul_f32_e32 v8, v5, v3
	v_fma_f32 v9, -v2, v8, v5
	v_fmac_f32_e32 v8, v9, v3
	v_fma_f32 v2, -v2, v8, v5
	v_div_fmas_f32 v2, v2, v3, v8
	v_div_fixup_f32 v2, v2, v12, 1.0
	v_cmp_neq_f32_e32 vcc, 0, v12
	v_mov_b32_e32 v5, v4
	s_nop 0
	v_cndmask_b32_e32 v13, 0, v2, vcc
	s_branch .LBB8_4
.LBB8_2:                                ;   in Loop: Header=BB8_4 Depth=1
	s_or_b64 exec, exec, s[4:5]
.LBB8_3:                                ;   in Loop: Header=BB8_4 Depth=1
	s_or_b64 exec, exec, s[2:3]
	s_getpc_b64 s[2:3]
	s_add_u32 s2, s2, _ZL13kvalues_iq4nl@rel32@lo+4
	s_addc_u32 s3, s3, _ZL13kvalues_iq4nl@rel32@hi+12
	v_and_b32_e32 v9, 0xff, v14
	v_and_b32_e32 v8, 0xff, v15
	global_load_sbyte v16, v9, s[2:3]
	global_load_sbyte v17, v8, s[2:3]
	v_lshl_or_b32 v18, v14, 4, v15
	v_lshl_add_u64 v[8:9], v[0:1], 0, s[0:1]
	v_pk_mul_f32 v[10:11], v[2:3], v[2:3]
	global_store_byte v[8:9], v18, off offset:2
	s_add_i32 s0, s0, 1
	s_cmp_lg_u32 s0, 16
	s_waitcnt vmcnt(2)
	v_cvt_f32_i32_e32 v15, v16
	s_waitcnt vmcnt(1)
	v_cvt_f32_i32_e32 v14, v17
	v_mov_b32_e32 v17, v3
	v_pk_mul_f32 v[8:9], v[10:11], v[14:15]
	v_pk_mov_b32 v[2:3], v[14:15], v[2:3] op_sel:[1,0]
	v_mov_b32_e32 v16, v14
	v_pk_mul_f32 v[2:3], v[2:3], v[8:9] op_sel:[0,1] op_sel_hi:[1,0]
	s_nop 0
	v_pk_fma_f32 v[2:3], v[16:17], v[8:9], v[2:3]
	s_nop 0
	v_pk_add_f32 v[4:5], v[4:5], v[2:3]
	s_cbranch_scc0 .LBB8_15
.LBB8_4:                                ; =>This Loop Header: Depth=1
                                        ;     Child Loop BB8_7 Depth 2
                                        ;     Child Loop BB8_13 Depth 2
	v_lshl_add_u64 v[8:9], s[0:1], 2, v[6:7]
	global_load_dword v2, v[8:9], off
	global_load_dword v3, v[8:9], off offset:64
	v_mov_b32_e32 v14, 0
	v_mov_b32_e32 v15, 0
	s_waitcnt vmcnt(1)
	v_mul_f32_e32 v8, v13, v2
	v_cmp_nge_f32_e32 vcc, s10, v8
	s_and_saveexec_b64 s[2:3], vcc
	s_cbranch_execz .LBB8_10
; %bb.5:                                ;   in Loop: Header=BB8_4 Depth=1
	v_cmp_nle_f32_e32 vcc, s11, v8
	v_mov_b32_e32 v15, 15
	s_and_saveexec_b64 s[4:5], vcc
	s_cbranch_execz .LBB8_9
; %bb.6:                                ;   in Loop: Header=BB8_4 Depth=1
	v_mov_b32_e32 v9, 0
	v_mov_b32_e32 v10, 15
	s_mov_b64 s[6:7], 0
.LBB8_7:                                ;   Parent Loop BB8_4 Depth=1
                                        ; =>  This Inner Loop Header: Depth=2
	v_add_u32_e32 v11, v9, v10
	v_lshrrev_b32_e32 v15, 31, v11
	v_add_u32_e32 v11, v11, v15
	v_ashrrev_i32_e32 v16, 1, v11
	s_getpc_b64 s[8:9]
	s_add_u32 s8, s8, _ZL13kvalues_iq4nl@rel32@lo+4
	s_addc_u32 s9, s9, _ZL13kvalues_iq4nl@rel32@hi+12
	v_ashrrev_i32_e32 v17, 31, v16
	v_lshl_add_u64 v[18:19], s[8:9], 0, v[16:17]
	global_load_sbyte v11, v[18:19], off
	s_waitcnt vmcnt(0)
	v_cvt_f32_i32_e32 v11, v11
	v_cmp_lt_f32_e32 vcc, v8, v11
	s_nop 1
	v_cndmask_b32_e32 v9, v16, v9, vcc
	v_cndmask_b32_e32 v10, v10, v16, vcc
	v_sub_u32_e32 v11, v10, v9
	v_cmp_gt_i32_e32 vcc, 2, v11
	s_or_b64 s[6:7], vcc, s[6:7]
	s_andn2_b64 exec, exec, s[6:7]
	s_cbranch_execnz .LBB8_7
; %bb.8:                                ;   in Loop: Header=BB8_4 Depth=1
	s_or_b64 exec, exec, s[6:7]
	v_add_u32_e32 v16, -1, v10
	v_ashrrev_i32_e32 v17, 31, v16
	v_lshl_add_u64 v[18:19], s[8:9], 0, v[16:17]
	v_ashrrev_i32_e32 v11, 31, v10
	v_lshl_add_u64 v[20:21], s[8:9], 0, v[10:11]
	global_load_sbyte v9, v[18:19], off
	global_load_sbyte v11, v[20:21], off
	v_mov_b32_e32 v19, v8
	s_waitcnt vmcnt(1)
	v_cvt_f32_i32_e32 v18, v9
	s_waitcnt vmcnt(0)
	v_cvt_f32_i32_e32 v9, v11
	v_pk_add_f32 v[8:9], v[8:9], v[18:19] neg_lo:[0,1] neg_hi:[0,1]
	s_nop 0
	v_cmp_lt_f32_e32 vcc, v8, v9
	s_nop 1
	v_cndmask_b32_e32 v15, v10, v16, vcc
.LBB8_9:                                ;   in Loop: Header=BB8_4 Depth=1
	s_or_b64 exec, exec, s[4:5]
.LBB8_10:                               ;   in Loop: Header=BB8_4 Depth=1
	s_or_b64 exec, exec, s[2:3]
	s_waitcnt vmcnt(0)
	v_mul_f32_e32 v8, v13, v3
	v_cmp_nge_f32_e32 vcc, s10, v8
	s_and_saveexec_b64 s[2:3], vcc
	s_cbranch_execz .LBB8_3
; %bb.11:                               ;   in Loop: Header=BB8_4 Depth=1
	v_cmp_nle_f32_e32 vcc, s11, v8
	v_mov_b32_e32 v14, 15
	s_and_saveexec_b64 s[4:5], vcc
	s_cbranch_execz .LBB8_2
; %bb.12:                               ;   in Loop: Header=BB8_4 Depth=1
	v_mov_b32_e32 v9, 0
	v_mov_b32_e32 v10, 15
	s_mov_b64 s[6:7], 0
.LBB8_13:                               ;   Parent Loop BB8_4 Depth=1
                                        ; =>  This Inner Loop Header: Depth=2
	v_add_u32_e32 v11, v9, v10
	v_lshrrev_b32_e32 v14, 31, v11
	v_add_u32_e32 v11, v11, v14
	v_ashrrev_i32_e32 v16, 1, v11
	s_getpc_b64 s[8:9]
	s_add_u32 s8, s8, _ZL13kvalues_iq4nl@rel32@lo+4
	s_addc_u32 s9, s9, _ZL13kvalues_iq4nl@rel32@hi+12
	v_ashrrev_i32_e32 v17, 31, v16
	v_lshl_add_u64 v[18:19], s[8:9], 0, v[16:17]
	global_load_sbyte v11, v[18:19], off
	s_waitcnt vmcnt(0)
	v_cvt_f32_i32_e32 v11, v11
	v_cmp_lt_f32_e32 vcc, v8, v11
	s_nop 1
	v_cndmask_b32_e32 v9, v16, v9, vcc
	v_cndmask_b32_e32 v10, v10, v16, vcc
	v_sub_u32_e32 v11, v10, v9
	v_cmp_gt_i32_e32 vcc, 2, v11
	s_or_b64 s[6:7], vcc, s[6:7]
	s_andn2_b64 exec, exec, s[6:7]
	s_cbranch_execnz .LBB8_13
; %bb.14:                               ;   in Loop: Header=BB8_4 Depth=1
	s_or_b64 exec, exec, s[6:7]
	v_add_u32_e32 v16, -1, v10
	v_ashrrev_i32_e32 v17, 31, v16
	v_lshl_add_u64 v[18:19], s[8:9], 0, v[16:17]
	v_ashrrev_i32_e32 v11, 31, v10
	v_lshl_add_u64 v[20:21], s[8:9], 0, v[10:11]
	global_load_sbyte v9, v[18:19], off
	global_load_sbyte v11, v[20:21], off
	v_mov_b32_e32 v19, v8
	s_waitcnt vmcnt(1)
	v_cvt_f32_i32_e32 v18, v9
	s_waitcnt vmcnt(0)
	v_cvt_f32_i32_e32 v9, v11
	v_pk_add_f32 v[8:9], v[8:9], v[18:19] neg_lo:[0,1] neg_hi:[0,1]
	s_nop 0
	v_cmp_lt_f32_e32 vcc, v8, v9
	s_nop 1
	v_cndmask_b32_e32 v14, v10, v16, vcc
	s_branch .LBB8_2
.LBB8_15:
	v_div_scale_f32 v2, s[0:1], v4, v4, v5
	v_rcp_f32_e32 v3, v2
	v_div_scale_f32 v6, vcc, v5, v4, v5
	v_fma_f32 v7, -v2, v3, 1.0
	v_fmac_f32_e32 v3, v7, v3
	v_mul_f32_e32 v7, v6, v3
	v_fma_f32 v8, -v2, v7, v6
	v_fmac_f32_e32 v7, v8, v3
	v_fma_f32 v2, -v2, v7, v6
	v_div_fmas_f32 v2, v2, v3, v7
	v_div_fixup_f32 v2, v2, v4, v5
	v_cmp_lt_f32_e32 vcc, 0, v4
	s_nop 1
	v_cndmask_b32_e32 v2, v12, v2, vcc
	v_cvt_f16_f32_e32 v2, v2
	global_store_short v[0:1], v2, off
.LBB8_16:
	s_endpgm
	.section	.rodata,"a",@progbits
	.p2align	6, 0x0
	.amdhsa_kernel _ZL16k_set_rows_quantIl12block_iq4_nlLi32ETnPFvPKfPT0_EXadL_ZL25quantize_f32_iq4_nl_blockS2_PS0_EEEvS2_PKT_S4_llllllllllllll15HIP_vector_typeIjLj3EESC_SC_SC_SC_
		.amdhsa_group_segment_fixed_size 0
		.amdhsa_private_segment_fixed_size 0
		.amdhsa_kernarg_size 456
		.amdhsa_user_sgpr_count 2
		.amdhsa_user_sgpr_dispatch_ptr 0
		.amdhsa_user_sgpr_queue_ptr 0
		.amdhsa_user_sgpr_kernarg_segment_ptr 1
		.amdhsa_user_sgpr_dispatch_id 0
		.amdhsa_user_sgpr_kernarg_preload_length 0
		.amdhsa_user_sgpr_kernarg_preload_offset 0
		.amdhsa_user_sgpr_private_segment_size 0
		.amdhsa_uses_dynamic_stack 0
		.amdhsa_enable_private_segment 0
		.amdhsa_system_sgpr_workgroup_id_x 1
		.amdhsa_system_sgpr_workgroup_id_y 0
		.amdhsa_system_sgpr_workgroup_id_z 0
		.amdhsa_system_sgpr_workgroup_info 0
		.amdhsa_system_vgpr_workitem_id 0
		.amdhsa_next_free_vgpr 48
		.amdhsa_next_free_sgpr 40
		.amdhsa_accum_offset 48
		.amdhsa_reserve_vcc 1
		.amdhsa_float_round_mode_32 0
		.amdhsa_float_round_mode_16_64 0
		.amdhsa_float_denorm_mode_32 3
		.amdhsa_float_denorm_mode_16_64 3
		.amdhsa_dx10_clamp 1
		.amdhsa_ieee_mode 1
		.amdhsa_fp16_overflow 0
		.amdhsa_tg_split 0
		.amdhsa_exception_fp_ieee_invalid_op 0
		.amdhsa_exception_fp_denorm_src 0
		.amdhsa_exception_fp_ieee_div_zero 0
		.amdhsa_exception_fp_ieee_overflow 0
		.amdhsa_exception_fp_ieee_underflow 0
		.amdhsa_exception_fp_ieee_inexact 0
		.amdhsa_exception_int_div_zero 0
	.end_amdhsa_kernel
	.section	.text._ZL16k_set_rows_quantIl12block_iq4_nlLi32ETnPFvPKfPT0_EXadL_ZL25quantize_f32_iq4_nl_blockS2_PS0_EEEvS2_PKT_S4_llllllllllllll15HIP_vector_typeIjLj3EESC_SC_SC_SC_,"axG",@progbits,_ZL16k_set_rows_quantIl12block_iq4_nlLi32ETnPFvPKfPT0_EXadL_ZL25quantize_f32_iq4_nl_blockS2_PS0_EEEvS2_PKT_S4_llllllllllllll15HIP_vector_typeIjLj3EESC_SC_SC_SC_,comdat
.Lfunc_end8:
	.size	_ZL16k_set_rows_quantIl12block_iq4_nlLi32ETnPFvPKfPT0_EXadL_ZL25quantize_f32_iq4_nl_blockS2_PS0_EEEvS2_PKT_S4_llllllllllllll15HIP_vector_typeIjLj3EESC_SC_SC_SC_, .Lfunc_end8-_ZL16k_set_rows_quantIl12block_iq4_nlLi32ETnPFvPKfPT0_EXadL_ZL25quantize_f32_iq4_nl_blockS2_PS0_EEEvS2_PKT_S4_llllllllllllll15HIP_vector_typeIjLj3EESC_SC_SC_SC_
                                        ; -- End function
	.set _ZL16k_set_rows_quantIl12block_iq4_nlLi32ETnPFvPKfPT0_EXadL_ZL25quantize_f32_iq4_nl_blockS2_PS0_EEEvS2_PKT_S4_llllllllllllll15HIP_vector_typeIjLj3EESC_SC_SC_SC_.num_vgpr, 48
	.set _ZL16k_set_rows_quantIl12block_iq4_nlLi32ETnPFvPKfPT0_EXadL_ZL25quantize_f32_iq4_nl_blockS2_PS0_EEEvS2_PKT_S4_llllllllllllll15HIP_vector_typeIjLj3EESC_SC_SC_SC_.num_agpr, 0
	.set _ZL16k_set_rows_quantIl12block_iq4_nlLi32ETnPFvPKfPT0_EXadL_ZL25quantize_f32_iq4_nl_blockS2_PS0_EEEvS2_PKT_S4_llllllllllllll15HIP_vector_typeIjLj3EESC_SC_SC_SC_.numbered_sgpr, 40
	.set _ZL16k_set_rows_quantIl12block_iq4_nlLi32ETnPFvPKfPT0_EXadL_ZL25quantize_f32_iq4_nl_blockS2_PS0_EEEvS2_PKT_S4_llllllllllllll15HIP_vector_typeIjLj3EESC_SC_SC_SC_.num_named_barrier, 0
	.set _ZL16k_set_rows_quantIl12block_iq4_nlLi32ETnPFvPKfPT0_EXadL_ZL25quantize_f32_iq4_nl_blockS2_PS0_EEEvS2_PKT_S4_llllllllllllll15HIP_vector_typeIjLj3EESC_SC_SC_SC_.private_seg_size, 0
	.set _ZL16k_set_rows_quantIl12block_iq4_nlLi32ETnPFvPKfPT0_EXadL_ZL25quantize_f32_iq4_nl_blockS2_PS0_EEEvS2_PKT_S4_llllllllllllll15HIP_vector_typeIjLj3EESC_SC_SC_SC_.uses_vcc, 1
	.set _ZL16k_set_rows_quantIl12block_iq4_nlLi32ETnPFvPKfPT0_EXadL_ZL25quantize_f32_iq4_nl_blockS2_PS0_EEEvS2_PKT_S4_llllllllllllll15HIP_vector_typeIjLj3EESC_SC_SC_SC_.uses_flat_scratch, 0
	.set _ZL16k_set_rows_quantIl12block_iq4_nlLi32ETnPFvPKfPT0_EXadL_ZL25quantize_f32_iq4_nl_blockS2_PS0_EEEvS2_PKT_S4_llllllllllllll15HIP_vector_typeIjLj3EESC_SC_SC_SC_.has_dyn_sized_stack, 0
	.set _ZL16k_set_rows_quantIl12block_iq4_nlLi32ETnPFvPKfPT0_EXadL_ZL25quantize_f32_iq4_nl_blockS2_PS0_EEEvS2_PKT_S4_llllllllllllll15HIP_vector_typeIjLj3EESC_SC_SC_SC_.has_recursion, 0
	.set _ZL16k_set_rows_quantIl12block_iq4_nlLi32ETnPFvPKfPT0_EXadL_ZL25quantize_f32_iq4_nl_blockS2_PS0_EEEvS2_PKT_S4_llllllllllllll15HIP_vector_typeIjLj3EESC_SC_SC_SC_.has_indirect_call, 0
	.section	.AMDGPU.csdata,"",@progbits
; Kernel info:
; codeLenInByte = 2520
; TotalNumSgprs: 46
; NumVgprs: 48
; NumAgprs: 0
; TotalNumVgprs: 48
; ScratchSize: 0
; MemoryBound: 0
; FloatMode: 240
; IeeeMode: 1
; LDSByteSize: 0 bytes/workgroup (compile time only)
; SGPRBlocks: 5
; VGPRBlocks: 5
; NumSGPRsForWavesPerEU: 46
; NumVGPRsForWavesPerEU: 48
; AccumOffset: 48
; Occupancy: 8
; WaveLimiterHint : 1
; COMPUTE_PGM_RSRC2:SCRATCH_EN: 0
; COMPUTE_PGM_RSRC2:USER_SGPR: 2
; COMPUTE_PGM_RSRC2:TRAP_HANDLER: 0
; COMPUTE_PGM_RSRC2:TGID_X_EN: 1
; COMPUTE_PGM_RSRC2:TGID_Y_EN: 0
; COMPUTE_PGM_RSRC2:TGID_Z_EN: 0
; COMPUTE_PGM_RSRC2:TIDIG_COMP_CNT: 0
; COMPUTE_PGM_RSRC3_GFX90A:ACCUM_OFFSET: 11
; COMPUTE_PGM_RSRC3_GFX90A:TG_SPLIT: 0
	.section	.text._ZL10k_set_rowsIfifEvPKT_PKT0_PT1_llllllllllllll15HIP_vector_typeIjLj3EES9_S9_S9_S9_,"axG",@progbits,_ZL10k_set_rowsIfifEvPKT_PKT0_PT1_llllllllllllll15HIP_vector_typeIjLj3EES9_S9_S9_S9_,comdat
	.globl	_ZL10k_set_rowsIfifEvPKT_PKT0_PT1_llllllllllllll15HIP_vector_typeIjLj3EES9_S9_S9_S9_ ; -- Begin function _ZL10k_set_rowsIfifEvPKT_PKT0_PT1_llllllllllllll15HIP_vector_typeIjLj3EES9_S9_S9_S9_
	.p2align	8
	.type	_ZL10k_set_rowsIfifEvPKT_PKT0_PT1_llllllllllllll15HIP_vector_typeIjLj3EES9_S9_S9_S9_,@function
_ZL10k_set_rowsIfifEvPKT_PKT0_PT1_llllllllllllll15HIP_vector_typeIjLj3EES9_S9_S9_S9_: ; @_ZL10k_set_rowsIfifEvPKT_PKT0_PT1_llllllllllllll15HIP_vector_typeIjLj3EES9_S9_S9_S9_
; %bb.0:
	s_load_dword s3, s[0:1], 0xd4
	s_load_dwordx8 s[16:23], s[0:1], 0x0
	v_mov_b32_e32 v1, 0
	v_mov_b32_e32 v2, s2
	s_waitcnt lgkmcnt(0)
	s_and_b32 s3, s3, 0xffff
	v_mad_u64_u32 v[2:3], s[2:3], s3, v2, v[0:1]
	v_cmp_gt_i64_e32 vcc, s[22:23], v[2:3]
	s_and_saveexec_b64 s[2:3], vcc
	s_cbranch_execz .LBB9_2
; %bb.1:
	v_mov_b32_e32 v4, s16
	v_mov_b32_e32 v5, s17
	;; [unrolled: 1-line block ×4, first 2 shown]
	s_load_dwordx8 s[24:31], s[0:1], 0x88
	s_load_dwordx16 s[4:19], s[0:1], 0x40
	s_load_dword s22, s[0:1], 0xc0
	s_load_dwordx2 s[2:3], s[0:1], 0xb8
	s_load_dwordx4 s[36:39], s[0:1], 0xa8
	s_waitcnt lgkmcnt(0)
	v_mul_hi_u32 v0, v2, s24
	v_add_u32_e32 v0, v0, v2
	v_lshrrev_b32_e32 v3, s25, v0
	v_mul_lo_u32 v0, v3, s26
	v_sub_u32_e32 v0, v2, v0
	v_mul_hi_u32 v2, v3, s27
	v_add_u32_e32 v2, v3, v2
	v_lshrrev_b32_e32 v2, s28, v2
	v_mul_lo_u32 v8, v2, s29
	v_sub_u32_e32 v10, v3, v8
	;; [unrolled: 5-line block ×5, first 2 shown]
	v_mad_u64_u32 v[2:3], s[2:3], s10, v10, 0
	v_mov_b32_e32 v8, v3
	v_mad_u64_u32 v[8:9], s[2:3], s11, v10, v[8:9]
	v_mov_b32_e32 v3, v8
	v_lshl_add_u64 v[2:3], v[2:3], 2, v[6:7]
	v_mad_u64_u32 v[6:7], s[2:3], s12, v14, 0
	v_mov_b32_e32 v8, v7
	v_mad_u64_u32 v[8:9], s[2:3], s13, v14, v[8:9]
	v_mov_b32_e32 v7, v8
	v_lshl_add_u64 v[2:3], v[6:7], 2, v[2:3]
	;; [unrolled: 5-line block ×3, first 2 shown]
	global_load_dword v13, v[2:3], off
	v_mad_u64_u32 v[2:3], s[2:3], s4, v10, 0
	v_mov_b32_e32 v6, v3
	v_mad_u64_u32 v[6:7], s[2:3], s5, v10, v[6:7]
	v_mov_b32_e32 v3, v6
	v_lshl_add_u64 v[2:3], v[2:3], 2, v[4:5]
	v_mad_u64_u32 v[4:5], s[2:3], s6, v12, 0
	v_mov_b32_e32 v6, v5
	v_mad_u64_u32 v[6:7], s[2:3], s7, v12, v[6:7]
	v_mov_b32_e32 v5, v6
	v_lshl_add_u64 v[2:3], v[4:5], 2, v[2:3]
	;; [unrolled: 5-line block ×3, first 2 shown]
	v_lshlrev_b64 v[0:1], 2, v[0:1]
	v_lshl_add_u64 v[2:3], v[2:3], 0, v[0:1]
	global_load_dword v14, v[2:3], off
	s_load_dwordx2 s[0:1], s[0:1], 0x80
	v_mad_u64_u32 v[8:9], s[2:3], s18, v12, 0
	v_mov_b32_e32 v10, v9
	v_mov_b32_e32 v2, s20
	s_waitcnt lgkmcnt(0)
	v_mad_u64_u32 v[4:5], s[2:3], s0, v11, 0
	v_mov_b32_e32 v6, v5
	v_mad_u64_u32 v[6:7], s[0:1], s1, v11, v[6:7]
	v_mad_u64_u32 v[10:11], s[0:1], s19, v12, v[10:11]
	v_mov_b32_e32 v9, v10
	v_mov_b32_e32 v3, s21
	s_waitcnt vmcnt(1)
	v_ashrrev_i32_e32 v5, 31, v13
	v_mul_lo_u32 v7, s17, v13
	v_mad_u64_u32 v[10:11], s[0:1], s16, v13, 0
	v_mul_lo_u32 v5, s16, v5
	v_add3_u32 v11, v11, v5, v7
	v_lshl_add_u64 v[2:3], v[10:11], 2, v[2:3]
	v_lshl_add_u64 v[2:3], v[8:9], 2, v[2:3]
	v_mov_b32_e32 v5, v6
	v_lshl_add_u64 v[2:3], v[4:5], 2, v[2:3]
	v_lshl_add_u64 v[0:1], v[2:3], 0, v[0:1]
	s_waitcnt vmcnt(0)
	global_store_dword v[0:1], v14, off
.LBB9_2:
	s_endpgm
	.section	.rodata,"a",@progbits
	.p2align	6, 0x0
	.amdhsa_kernel _ZL10k_set_rowsIfifEvPKT_PKT0_PT1_llllllllllllll15HIP_vector_typeIjLj3EES9_S9_S9_S9_
		.amdhsa_group_segment_fixed_size 0
		.amdhsa_private_segment_fixed_size 0
		.amdhsa_kernarg_size 456
		.amdhsa_user_sgpr_count 2
		.amdhsa_user_sgpr_dispatch_ptr 0
		.amdhsa_user_sgpr_queue_ptr 0
		.amdhsa_user_sgpr_kernarg_segment_ptr 1
		.amdhsa_user_sgpr_dispatch_id 0
		.amdhsa_user_sgpr_kernarg_preload_length 0
		.amdhsa_user_sgpr_kernarg_preload_offset 0
		.amdhsa_user_sgpr_private_segment_size 0
		.amdhsa_uses_dynamic_stack 0
		.amdhsa_enable_private_segment 0
		.amdhsa_system_sgpr_workgroup_id_x 1
		.amdhsa_system_sgpr_workgroup_id_y 0
		.amdhsa_system_sgpr_workgroup_id_z 0
		.amdhsa_system_sgpr_workgroup_info 0
		.amdhsa_system_vgpr_workitem_id 0
		.amdhsa_next_free_vgpr 15
		.amdhsa_next_free_sgpr 40
		.amdhsa_accum_offset 16
		.amdhsa_reserve_vcc 1
		.amdhsa_float_round_mode_32 0
		.amdhsa_float_round_mode_16_64 0
		.amdhsa_float_denorm_mode_32 3
		.amdhsa_float_denorm_mode_16_64 3
		.amdhsa_dx10_clamp 1
		.amdhsa_ieee_mode 1
		.amdhsa_fp16_overflow 0
		.amdhsa_tg_split 0
		.amdhsa_exception_fp_ieee_invalid_op 0
		.amdhsa_exception_fp_denorm_src 0
		.amdhsa_exception_fp_ieee_div_zero 0
		.amdhsa_exception_fp_ieee_overflow 0
		.amdhsa_exception_fp_ieee_underflow 0
		.amdhsa_exception_fp_ieee_inexact 0
		.amdhsa_exception_int_div_zero 0
	.end_amdhsa_kernel
	.section	.text._ZL10k_set_rowsIfifEvPKT_PKT0_PT1_llllllllllllll15HIP_vector_typeIjLj3EES9_S9_S9_S9_,"axG",@progbits,_ZL10k_set_rowsIfifEvPKT_PKT0_PT1_llllllllllllll15HIP_vector_typeIjLj3EES9_S9_S9_S9_,comdat
.Lfunc_end9:
	.size	_ZL10k_set_rowsIfifEvPKT_PKT0_PT1_llllllllllllll15HIP_vector_typeIjLj3EES9_S9_S9_S9_, .Lfunc_end9-_ZL10k_set_rowsIfifEvPKT_PKT0_PT1_llllllllllllll15HIP_vector_typeIjLj3EES9_S9_S9_S9_
                                        ; -- End function
	.set _ZL10k_set_rowsIfifEvPKT_PKT0_PT1_llllllllllllll15HIP_vector_typeIjLj3EES9_S9_S9_S9_.num_vgpr, 15
	.set _ZL10k_set_rowsIfifEvPKT_PKT0_PT1_llllllllllllll15HIP_vector_typeIjLj3EES9_S9_S9_S9_.num_agpr, 0
	.set _ZL10k_set_rowsIfifEvPKT_PKT0_PT1_llllllllllllll15HIP_vector_typeIjLj3EES9_S9_S9_S9_.numbered_sgpr, 40
	.set _ZL10k_set_rowsIfifEvPKT_PKT0_PT1_llllllllllllll15HIP_vector_typeIjLj3EES9_S9_S9_S9_.num_named_barrier, 0
	.set _ZL10k_set_rowsIfifEvPKT_PKT0_PT1_llllllllllllll15HIP_vector_typeIjLj3EES9_S9_S9_S9_.private_seg_size, 0
	.set _ZL10k_set_rowsIfifEvPKT_PKT0_PT1_llllllllllllll15HIP_vector_typeIjLj3EES9_S9_S9_S9_.uses_vcc, 1
	.set _ZL10k_set_rowsIfifEvPKT_PKT0_PT1_llllllllllllll15HIP_vector_typeIjLj3EES9_S9_S9_S9_.uses_flat_scratch, 0
	.set _ZL10k_set_rowsIfifEvPKT_PKT0_PT1_llllllllllllll15HIP_vector_typeIjLj3EES9_S9_S9_S9_.has_dyn_sized_stack, 0
	.set _ZL10k_set_rowsIfifEvPKT_PKT0_PT1_llllllllllllll15HIP_vector_typeIjLj3EES9_S9_S9_S9_.has_recursion, 0
	.set _ZL10k_set_rowsIfifEvPKT_PKT0_PT1_llllllllllllll15HIP_vector_typeIjLj3EES9_S9_S9_S9_.has_indirect_call, 0
	.section	.AMDGPU.csdata,"",@progbits
; Kernel info:
; codeLenInByte = 636
; TotalNumSgprs: 46
; NumVgprs: 15
; NumAgprs: 0
; TotalNumVgprs: 15
; ScratchSize: 0
; MemoryBound: 0
; FloatMode: 240
; IeeeMode: 1
; LDSByteSize: 0 bytes/workgroup (compile time only)
; SGPRBlocks: 5
; VGPRBlocks: 1
; NumSGPRsForWavesPerEU: 46
; NumVGPRsForWavesPerEU: 15
; AccumOffset: 16
; Occupancy: 8
; WaveLimiterHint : 1
; COMPUTE_PGM_RSRC2:SCRATCH_EN: 0
; COMPUTE_PGM_RSRC2:USER_SGPR: 2
; COMPUTE_PGM_RSRC2:TRAP_HANDLER: 0
; COMPUTE_PGM_RSRC2:TGID_X_EN: 1
; COMPUTE_PGM_RSRC2:TGID_Y_EN: 0
; COMPUTE_PGM_RSRC2:TGID_Z_EN: 0
; COMPUTE_PGM_RSRC2:TIDIG_COMP_CNT: 0
; COMPUTE_PGM_RSRC3_GFX90A:ACCUM_OFFSET: 3
; COMPUTE_PGM_RSRC3_GFX90A:TG_SPLIT: 0
	.section	.text._ZL10k_set_rowsIfi6__halfEvPKT_PKT0_PT1_llllllllllllll15HIP_vector_typeIjLj3EESA_SA_SA_SA_,"axG",@progbits,_ZL10k_set_rowsIfi6__halfEvPKT_PKT0_PT1_llllllllllllll15HIP_vector_typeIjLj3EESA_SA_SA_SA_,comdat
	.globl	_ZL10k_set_rowsIfi6__halfEvPKT_PKT0_PT1_llllllllllllll15HIP_vector_typeIjLj3EESA_SA_SA_SA_ ; -- Begin function _ZL10k_set_rowsIfi6__halfEvPKT_PKT0_PT1_llllllllllllll15HIP_vector_typeIjLj3EESA_SA_SA_SA_
	.p2align	8
	.type	_ZL10k_set_rowsIfi6__halfEvPKT_PKT0_PT1_llllllllllllll15HIP_vector_typeIjLj3EESA_SA_SA_SA_,@function
_ZL10k_set_rowsIfi6__halfEvPKT_PKT0_PT1_llllllllllllll15HIP_vector_typeIjLj3EESA_SA_SA_SA_: ; @_ZL10k_set_rowsIfi6__halfEvPKT_PKT0_PT1_llllllllllllll15HIP_vector_typeIjLj3EESA_SA_SA_SA_
; %bb.0:
	s_load_dword s3, s[0:1], 0xd4
	s_load_dwordx8 s[16:23], s[0:1], 0x0
	v_mov_b32_e32 v1, 0
	v_mov_b32_e32 v2, s2
	s_waitcnt lgkmcnt(0)
	s_and_b32 s3, s3, 0xffff
	v_mad_u64_u32 v[2:3], s[2:3], s3, v2, v[0:1]
	v_cmp_gt_i64_e32 vcc, s[22:23], v[2:3]
	s_and_saveexec_b64 s[2:3], vcc
	s_cbranch_execz .LBB10_2
; %bb.1:
	v_mov_b32_e32 v4, s16
	v_mov_b32_e32 v5, s17
	;; [unrolled: 1-line block ×4, first 2 shown]
	s_load_dwordx8 s[24:31], s[0:1], 0x88
	s_load_dwordx16 s[4:19], s[0:1], 0x40
	s_load_dword s22, s[0:1], 0xc0
	s_load_dwordx2 s[2:3], s[0:1], 0xb8
	s_load_dwordx4 s[36:39], s[0:1], 0xa8
	s_waitcnt lgkmcnt(0)
	v_mul_hi_u32 v0, v2, s24
	v_add_u32_e32 v0, v0, v2
	v_lshrrev_b32_e32 v3, s25, v0
	v_mul_lo_u32 v0, v3, s26
	v_sub_u32_e32 v0, v2, v0
	v_mul_hi_u32 v2, v3, s27
	v_add_u32_e32 v2, v3, v2
	v_lshrrev_b32_e32 v2, s28, v2
	v_mul_lo_u32 v8, v2, s29
	v_sub_u32_e32 v10, v3, v8
	;; [unrolled: 5-line block ×5, first 2 shown]
	v_mad_u64_u32 v[2:3], s[2:3], s10, v10, 0
	v_mov_b32_e32 v8, v3
	v_mad_u64_u32 v[8:9], s[2:3], s11, v10, v[8:9]
	v_mov_b32_e32 v3, v8
	v_lshl_add_u64 v[2:3], v[2:3], 2, v[6:7]
	v_mad_u64_u32 v[6:7], s[2:3], s12, v14, 0
	v_mov_b32_e32 v8, v7
	v_mad_u64_u32 v[8:9], s[2:3], s13, v14, v[8:9]
	v_mov_b32_e32 v7, v8
	v_lshl_add_u64 v[2:3], v[6:7], 2, v[2:3]
	;; [unrolled: 5-line block ×6, first 2 shown]
	v_lshl_add_u64 v[4:5], v[0:1], 2, v[4:5]
	global_load_dword v13, v[4:5], off
	global_load_dword v14, v[2:3], off
	s_load_dwordx2 s[0:1], s[0:1], 0x80
	v_mad_u64_u32 v[8:9], s[2:3], s18, v12, 0
	v_mov_b32_e32 v10, v9
	v_mov_b32_e32 v2, s20
	s_waitcnt lgkmcnt(0)
	v_mad_u64_u32 v[4:5], s[2:3], s0, v11, 0
	v_mov_b32_e32 v6, v5
	v_mad_u64_u32 v[6:7], s[0:1], s1, v11, v[6:7]
	v_mad_u64_u32 v[10:11], s[0:1], s19, v12, v[10:11]
	v_mov_b32_e32 v9, v10
	v_mov_b32_e32 v3, s21
	s_waitcnt vmcnt(1)
	v_cvt_f16_f32_e32 v7, v13
	s_waitcnt vmcnt(0)
	v_ashrrev_i32_e32 v5, 31, v14
	v_mul_lo_u32 v12, s17, v14
	v_mad_u64_u32 v[10:11], s[0:1], s16, v14, 0
	v_mul_lo_u32 v5, s16, v5
	v_add3_u32 v11, v11, v5, v12
	v_lshl_add_u64 v[2:3], v[10:11], 1, v[2:3]
	v_lshl_add_u64 v[2:3], v[8:9], 1, v[2:3]
	v_mov_b32_e32 v5, v6
	v_lshl_add_u64 v[2:3], v[4:5], 1, v[2:3]
	v_lshl_add_u64 v[0:1], v[0:1], 1, v[2:3]
	global_store_short v[0:1], v7, off
.LBB10_2:
	s_endpgm
	.section	.rodata,"a",@progbits
	.p2align	6, 0x0
	.amdhsa_kernel _ZL10k_set_rowsIfi6__halfEvPKT_PKT0_PT1_llllllllllllll15HIP_vector_typeIjLj3EESA_SA_SA_SA_
		.amdhsa_group_segment_fixed_size 0
		.amdhsa_private_segment_fixed_size 0
		.amdhsa_kernarg_size 456
		.amdhsa_user_sgpr_count 2
		.amdhsa_user_sgpr_dispatch_ptr 0
		.amdhsa_user_sgpr_queue_ptr 0
		.amdhsa_user_sgpr_kernarg_segment_ptr 1
		.amdhsa_user_sgpr_dispatch_id 0
		.amdhsa_user_sgpr_kernarg_preload_length 0
		.amdhsa_user_sgpr_kernarg_preload_offset 0
		.amdhsa_user_sgpr_private_segment_size 0
		.amdhsa_uses_dynamic_stack 0
		.amdhsa_enable_private_segment 0
		.amdhsa_system_sgpr_workgroup_id_x 1
		.amdhsa_system_sgpr_workgroup_id_y 0
		.amdhsa_system_sgpr_workgroup_id_z 0
		.amdhsa_system_sgpr_workgroup_info 0
		.amdhsa_system_vgpr_workitem_id 0
		.amdhsa_next_free_vgpr 15
		.amdhsa_next_free_sgpr 40
		.amdhsa_accum_offset 16
		.amdhsa_reserve_vcc 1
		.amdhsa_float_round_mode_32 0
		.amdhsa_float_round_mode_16_64 0
		.amdhsa_float_denorm_mode_32 3
		.amdhsa_float_denorm_mode_16_64 3
		.amdhsa_dx10_clamp 1
		.amdhsa_ieee_mode 1
		.amdhsa_fp16_overflow 0
		.amdhsa_tg_split 0
		.amdhsa_exception_fp_ieee_invalid_op 0
		.amdhsa_exception_fp_denorm_src 0
		.amdhsa_exception_fp_ieee_div_zero 0
		.amdhsa_exception_fp_ieee_overflow 0
		.amdhsa_exception_fp_ieee_underflow 0
		.amdhsa_exception_fp_ieee_inexact 0
		.amdhsa_exception_int_div_zero 0
	.end_amdhsa_kernel
	.section	.text._ZL10k_set_rowsIfi6__halfEvPKT_PKT0_PT1_llllllllllllll15HIP_vector_typeIjLj3EESA_SA_SA_SA_,"axG",@progbits,_ZL10k_set_rowsIfi6__halfEvPKT_PKT0_PT1_llllllllllllll15HIP_vector_typeIjLj3EESA_SA_SA_SA_,comdat
.Lfunc_end10:
	.size	_ZL10k_set_rowsIfi6__halfEvPKT_PKT0_PT1_llllllllllllll15HIP_vector_typeIjLj3EESA_SA_SA_SA_, .Lfunc_end10-_ZL10k_set_rowsIfi6__halfEvPKT_PKT0_PT1_llllllllllllll15HIP_vector_typeIjLj3EESA_SA_SA_SA_
                                        ; -- End function
	.set _ZL10k_set_rowsIfi6__halfEvPKT_PKT0_PT1_llllllllllllll15HIP_vector_typeIjLj3EESA_SA_SA_SA_.num_vgpr, 15
	.set _ZL10k_set_rowsIfi6__halfEvPKT_PKT0_PT1_llllllllllllll15HIP_vector_typeIjLj3EESA_SA_SA_SA_.num_agpr, 0
	.set _ZL10k_set_rowsIfi6__halfEvPKT_PKT0_PT1_llllllllllllll15HIP_vector_typeIjLj3EESA_SA_SA_SA_.numbered_sgpr, 40
	.set _ZL10k_set_rowsIfi6__halfEvPKT_PKT0_PT1_llllllllllllll15HIP_vector_typeIjLj3EESA_SA_SA_SA_.num_named_barrier, 0
	.set _ZL10k_set_rowsIfi6__halfEvPKT_PKT0_PT1_llllllllllllll15HIP_vector_typeIjLj3EESA_SA_SA_SA_.private_seg_size, 0
	.set _ZL10k_set_rowsIfi6__halfEvPKT_PKT0_PT1_llllllllllllll15HIP_vector_typeIjLj3EESA_SA_SA_SA_.uses_vcc, 1
	.set _ZL10k_set_rowsIfi6__halfEvPKT_PKT0_PT1_llllllllllllll15HIP_vector_typeIjLj3EESA_SA_SA_SA_.uses_flat_scratch, 0
	.set _ZL10k_set_rowsIfi6__halfEvPKT_PKT0_PT1_llllllllllllll15HIP_vector_typeIjLj3EESA_SA_SA_SA_.has_dyn_sized_stack, 0
	.set _ZL10k_set_rowsIfi6__halfEvPKT_PKT0_PT1_llllllllllllll15HIP_vector_typeIjLj3EESA_SA_SA_SA_.has_recursion, 0
	.set _ZL10k_set_rowsIfi6__halfEvPKT_PKT0_PT1_llllllllllllll15HIP_vector_typeIjLj3EESA_SA_SA_SA_.has_indirect_call, 0
	.section	.AMDGPU.csdata,"",@progbits
; Kernel info:
; codeLenInByte = 632
; TotalNumSgprs: 46
; NumVgprs: 15
; NumAgprs: 0
; TotalNumVgprs: 15
; ScratchSize: 0
; MemoryBound: 0
; FloatMode: 240
; IeeeMode: 1
; LDSByteSize: 0 bytes/workgroup (compile time only)
; SGPRBlocks: 5
; VGPRBlocks: 1
; NumSGPRsForWavesPerEU: 46
; NumVGPRsForWavesPerEU: 15
; AccumOffset: 16
; Occupancy: 8
; WaveLimiterHint : 1
; COMPUTE_PGM_RSRC2:SCRATCH_EN: 0
; COMPUTE_PGM_RSRC2:USER_SGPR: 2
; COMPUTE_PGM_RSRC2:TRAP_HANDLER: 0
; COMPUTE_PGM_RSRC2:TGID_X_EN: 1
; COMPUTE_PGM_RSRC2:TGID_Y_EN: 0
; COMPUTE_PGM_RSRC2:TGID_Z_EN: 0
; COMPUTE_PGM_RSRC2:TIDIG_COMP_CNT: 0
; COMPUTE_PGM_RSRC3_GFX90A:ACCUM_OFFSET: 3
; COMPUTE_PGM_RSRC3_GFX90A:TG_SPLIT: 0
	.section	.text._ZL10k_set_rowsIfi14__hip_bfloat16EvPKT_PKT0_PT1_llllllllllllll15HIP_vector_typeIjLj3EESA_SA_SA_SA_,"axG",@progbits,_ZL10k_set_rowsIfi14__hip_bfloat16EvPKT_PKT0_PT1_llllllllllllll15HIP_vector_typeIjLj3EESA_SA_SA_SA_,comdat
	.globl	_ZL10k_set_rowsIfi14__hip_bfloat16EvPKT_PKT0_PT1_llllllllllllll15HIP_vector_typeIjLj3EESA_SA_SA_SA_ ; -- Begin function _ZL10k_set_rowsIfi14__hip_bfloat16EvPKT_PKT0_PT1_llllllllllllll15HIP_vector_typeIjLj3EESA_SA_SA_SA_
	.p2align	8
	.type	_ZL10k_set_rowsIfi14__hip_bfloat16EvPKT_PKT0_PT1_llllllllllllll15HIP_vector_typeIjLj3EESA_SA_SA_SA_,@function
_ZL10k_set_rowsIfi14__hip_bfloat16EvPKT_PKT0_PT1_llllllllllllll15HIP_vector_typeIjLj3EESA_SA_SA_SA_: ; @_ZL10k_set_rowsIfi14__hip_bfloat16EvPKT_PKT0_PT1_llllllllllllll15HIP_vector_typeIjLj3EESA_SA_SA_SA_
; %bb.0:
	s_load_dword s3, s[0:1], 0xd4
	s_load_dwordx8 s[16:23], s[0:1], 0x0
	v_mov_b32_e32 v1, 0
	v_mov_b32_e32 v2, s2
	s_waitcnt lgkmcnt(0)
	s_and_b32 s3, s3, 0xffff
	v_mad_u64_u32 v[2:3], s[2:3], s3, v2, v[0:1]
	v_cmp_gt_i64_e32 vcc, s[22:23], v[2:3]
	s_and_saveexec_b64 s[2:3], vcc
	s_cbranch_execz .LBB11_2
; %bb.1:
	v_mov_b32_e32 v4, s16
	v_mov_b32_e32 v5, s17
	;; [unrolled: 1-line block ×4, first 2 shown]
	s_load_dwordx8 s[24:31], s[0:1], 0x88
	s_load_dwordx16 s[4:19], s[0:1], 0x40
	s_load_dword s22, s[0:1], 0xc0
	s_load_dwordx2 s[2:3], s[0:1], 0xb8
	s_load_dwordx4 s[36:39], s[0:1], 0xa8
	s_waitcnt lgkmcnt(0)
	v_mul_hi_u32 v0, v2, s24
	v_add_u32_e32 v0, v0, v2
	v_lshrrev_b32_e32 v3, s25, v0
	v_mul_lo_u32 v0, v3, s26
	v_sub_u32_e32 v0, v2, v0
	v_mul_hi_u32 v2, v3, s27
	v_add_u32_e32 v2, v3, v2
	v_lshrrev_b32_e32 v2, s28, v2
	v_mul_lo_u32 v8, v2, s29
	v_sub_u32_e32 v10, v3, v8
	;; [unrolled: 5-line block ×5, first 2 shown]
	v_mad_u64_u32 v[2:3], s[2:3], s10, v10, 0
	v_mov_b32_e32 v8, v3
	v_mad_u64_u32 v[8:9], s[2:3], s11, v10, v[8:9]
	v_mov_b32_e32 v3, v8
	v_lshl_add_u64 v[2:3], v[2:3], 2, v[6:7]
	v_mad_u64_u32 v[6:7], s[2:3], s12, v14, 0
	v_mov_b32_e32 v8, v7
	v_mad_u64_u32 v[8:9], s[2:3], s13, v14, v[8:9]
	v_mov_b32_e32 v7, v8
	v_lshl_add_u64 v[2:3], v[6:7], 2, v[2:3]
	;; [unrolled: 5-line block ×3, first 2 shown]
	global_load_dword v13, v[2:3], off
	v_mad_u64_u32 v[2:3], s[2:3], s4, v10, 0
	v_mov_b32_e32 v6, v3
	v_mad_u64_u32 v[6:7], s[2:3], s5, v10, v[6:7]
	v_mov_b32_e32 v3, v6
	v_lshl_add_u64 v[2:3], v[2:3], 2, v[4:5]
	v_mad_u64_u32 v[4:5], s[2:3], s6, v12, 0
	v_mov_b32_e32 v6, v5
	v_mad_u64_u32 v[6:7], s[2:3], s7, v12, v[6:7]
	v_mov_b32_e32 v5, v6
	v_lshl_add_u64 v[2:3], v[4:5], 2, v[2:3]
	;; [unrolled: 5-line block ×3, first 2 shown]
	v_lshl_add_u64 v[2:3], v[0:1], 2, v[2:3]
	global_load_dword v14, v[2:3], off
	s_load_dwordx2 s[0:1], s[0:1], 0x80
	v_mad_u64_u32 v[8:9], s[2:3], s18, v12, 0
	v_mov_b32_e32 v10, v9
	v_mov_b32_e32 v2, s20
	s_waitcnt lgkmcnt(0)
	v_mad_u64_u32 v[4:5], s[2:3], s0, v11, 0
	v_mov_b32_e32 v6, v5
	v_mad_u64_u32 v[6:7], s[0:1], s1, v11, v[6:7]
	v_mov_b32_e32 v5, v6
	;; [unrolled: 2-line block ×3, first 2 shown]
	v_mov_b32_e32 v3, s21
	s_waitcnt vmcnt(1)
	v_ashrrev_i32_e32 v10, 31, v13
	v_mul_lo_u32 v11, s17, v13
	v_mad_u64_u32 v[6:7], s[0:1], s16, v13, 0
	v_mul_lo_u32 v10, s16, v10
	v_add3_u32 v7, v7, v10, v11
	v_lshl_add_u64 v[2:3], v[6:7], 1, v[2:3]
	v_lshl_add_u64 v[2:3], v[8:9], 1, v[2:3]
	;; [unrolled: 1-line block ×4, first 2 shown]
	s_waitcnt vmcnt(0)
	v_cvt_pk_bf16_f32 v4, v14, s0
	global_store_short v[0:1], v4, off
.LBB11_2:
	s_endpgm
	.section	.rodata,"a",@progbits
	.p2align	6, 0x0
	.amdhsa_kernel _ZL10k_set_rowsIfi14__hip_bfloat16EvPKT_PKT0_PT1_llllllllllllll15HIP_vector_typeIjLj3EESA_SA_SA_SA_
		.amdhsa_group_segment_fixed_size 0
		.amdhsa_private_segment_fixed_size 0
		.amdhsa_kernarg_size 456
		.amdhsa_user_sgpr_count 2
		.amdhsa_user_sgpr_dispatch_ptr 0
		.amdhsa_user_sgpr_queue_ptr 0
		.amdhsa_user_sgpr_kernarg_segment_ptr 1
		.amdhsa_user_sgpr_dispatch_id 0
		.amdhsa_user_sgpr_kernarg_preload_length 0
		.amdhsa_user_sgpr_kernarg_preload_offset 0
		.amdhsa_user_sgpr_private_segment_size 0
		.amdhsa_uses_dynamic_stack 0
		.amdhsa_enable_private_segment 0
		.amdhsa_system_sgpr_workgroup_id_x 1
		.amdhsa_system_sgpr_workgroup_id_y 0
		.amdhsa_system_sgpr_workgroup_id_z 0
		.amdhsa_system_sgpr_workgroup_info 0
		.amdhsa_system_vgpr_workitem_id 0
		.amdhsa_next_free_vgpr 15
		.amdhsa_next_free_sgpr 40
		.amdhsa_accum_offset 16
		.amdhsa_reserve_vcc 1
		.amdhsa_float_round_mode_32 0
		.amdhsa_float_round_mode_16_64 0
		.amdhsa_float_denorm_mode_32 3
		.amdhsa_float_denorm_mode_16_64 3
		.amdhsa_dx10_clamp 1
		.amdhsa_ieee_mode 1
		.amdhsa_fp16_overflow 0
		.amdhsa_tg_split 0
		.amdhsa_exception_fp_ieee_invalid_op 0
		.amdhsa_exception_fp_denorm_src 0
		.amdhsa_exception_fp_ieee_div_zero 0
		.amdhsa_exception_fp_ieee_overflow 0
		.amdhsa_exception_fp_ieee_underflow 0
		.amdhsa_exception_fp_ieee_inexact 0
		.amdhsa_exception_int_div_zero 0
	.end_amdhsa_kernel
	.section	.text._ZL10k_set_rowsIfi14__hip_bfloat16EvPKT_PKT0_PT1_llllllllllllll15HIP_vector_typeIjLj3EESA_SA_SA_SA_,"axG",@progbits,_ZL10k_set_rowsIfi14__hip_bfloat16EvPKT_PKT0_PT1_llllllllllllll15HIP_vector_typeIjLj3EESA_SA_SA_SA_,comdat
.Lfunc_end11:
	.size	_ZL10k_set_rowsIfi14__hip_bfloat16EvPKT_PKT0_PT1_llllllllllllll15HIP_vector_typeIjLj3EESA_SA_SA_SA_, .Lfunc_end11-_ZL10k_set_rowsIfi14__hip_bfloat16EvPKT_PKT0_PT1_llllllllllllll15HIP_vector_typeIjLj3EESA_SA_SA_SA_
                                        ; -- End function
	.set _ZL10k_set_rowsIfi14__hip_bfloat16EvPKT_PKT0_PT1_llllllllllllll15HIP_vector_typeIjLj3EESA_SA_SA_SA_.num_vgpr, 15
	.set _ZL10k_set_rowsIfi14__hip_bfloat16EvPKT_PKT0_PT1_llllllllllllll15HIP_vector_typeIjLj3EESA_SA_SA_SA_.num_agpr, 0
	.set _ZL10k_set_rowsIfi14__hip_bfloat16EvPKT_PKT0_PT1_llllllllllllll15HIP_vector_typeIjLj3EESA_SA_SA_SA_.numbered_sgpr, 40
	.set _ZL10k_set_rowsIfi14__hip_bfloat16EvPKT_PKT0_PT1_llllllllllllll15HIP_vector_typeIjLj3EESA_SA_SA_SA_.num_named_barrier, 0
	.set _ZL10k_set_rowsIfi14__hip_bfloat16EvPKT_PKT0_PT1_llllllllllllll15HIP_vector_typeIjLj3EESA_SA_SA_SA_.private_seg_size, 0
	.set _ZL10k_set_rowsIfi14__hip_bfloat16EvPKT_PKT0_PT1_llllllllllllll15HIP_vector_typeIjLj3EESA_SA_SA_SA_.uses_vcc, 1
	.set _ZL10k_set_rowsIfi14__hip_bfloat16EvPKT_PKT0_PT1_llllllllllllll15HIP_vector_typeIjLj3EESA_SA_SA_SA_.uses_flat_scratch, 0
	.set _ZL10k_set_rowsIfi14__hip_bfloat16EvPKT_PKT0_PT1_llllllllllllll15HIP_vector_typeIjLj3EESA_SA_SA_SA_.has_dyn_sized_stack, 0
	.set _ZL10k_set_rowsIfi14__hip_bfloat16EvPKT_PKT0_PT1_llllllllllllll15HIP_vector_typeIjLj3EESA_SA_SA_SA_.has_recursion, 0
	.set _ZL10k_set_rowsIfi14__hip_bfloat16EvPKT_PKT0_PT1_llllllllllllll15HIP_vector_typeIjLj3EESA_SA_SA_SA_.has_indirect_call, 0
	.section	.AMDGPU.csdata,"",@progbits
; Kernel info:
; codeLenInByte = 636
; TotalNumSgprs: 46
; NumVgprs: 15
; NumAgprs: 0
; TotalNumVgprs: 15
; ScratchSize: 0
; MemoryBound: 0
; FloatMode: 240
; IeeeMode: 1
; LDSByteSize: 0 bytes/workgroup (compile time only)
; SGPRBlocks: 5
; VGPRBlocks: 1
; NumSGPRsForWavesPerEU: 46
; NumVGPRsForWavesPerEU: 15
; AccumOffset: 16
; Occupancy: 8
; WaveLimiterHint : 1
; COMPUTE_PGM_RSRC2:SCRATCH_EN: 0
; COMPUTE_PGM_RSRC2:USER_SGPR: 2
; COMPUTE_PGM_RSRC2:TRAP_HANDLER: 0
; COMPUTE_PGM_RSRC2:TGID_X_EN: 1
; COMPUTE_PGM_RSRC2:TGID_Y_EN: 0
; COMPUTE_PGM_RSRC2:TGID_Z_EN: 0
; COMPUTE_PGM_RSRC2:TIDIG_COMP_CNT: 0
; COMPUTE_PGM_RSRC3_GFX90A:ACCUM_OFFSET: 3
; COMPUTE_PGM_RSRC3_GFX90A:TG_SPLIT: 0
	.section	.text._ZL16k_set_rows_quantIi10block_q4_0Li32ETnPFvPKfPT0_EXadL_ZL23quantize_f32_q4_0_blockS2_PS0_EEEvS2_PKT_S4_llllllllllllll15HIP_vector_typeIjLj3EESC_SC_SC_SC_,"axG",@progbits,_ZL16k_set_rows_quantIi10block_q4_0Li32ETnPFvPKfPT0_EXadL_ZL23quantize_f32_q4_0_blockS2_PS0_EEEvS2_PKT_S4_llllllllllllll15HIP_vector_typeIjLj3EESC_SC_SC_SC_,comdat
	.globl	_ZL16k_set_rows_quantIi10block_q4_0Li32ETnPFvPKfPT0_EXadL_ZL23quantize_f32_q4_0_blockS2_PS0_EEEvS2_PKT_S4_llllllllllllll15HIP_vector_typeIjLj3EESC_SC_SC_SC_ ; -- Begin function _ZL16k_set_rows_quantIi10block_q4_0Li32ETnPFvPKfPT0_EXadL_ZL23quantize_f32_q4_0_blockS2_PS0_EEEvS2_PKT_S4_llllllllllllll15HIP_vector_typeIjLj3EESC_SC_SC_SC_
	.p2align	8
	.type	_ZL16k_set_rows_quantIi10block_q4_0Li32ETnPFvPKfPT0_EXadL_ZL23quantize_f32_q4_0_blockS2_PS0_EEEvS2_PKT_S4_llllllllllllll15HIP_vector_typeIjLj3EESC_SC_SC_SC_,@function
_ZL16k_set_rows_quantIi10block_q4_0Li32ETnPFvPKfPT0_EXadL_ZL23quantize_f32_q4_0_blockS2_PS0_EEEvS2_PKT_S4_llllllllllllll15HIP_vector_typeIjLj3EESC_SC_SC_SC_: ; @_ZL16k_set_rows_quantIi10block_q4_0Li32ETnPFvPKfPT0_EXadL_ZL23quantize_f32_q4_0_blockS2_PS0_EEEvS2_PKT_S4_llllllllllllll15HIP_vector_typeIjLj3EESC_SC_SC_SC_
; %bb.0:
	s_load_dword s3, s[0:1], 0xd4
	s_load_dwordx2 s[4:5], s[0:1], 0x18
	v_mov_b32_e32 v1, 0
	v_mov_b32_e32 v2, s2
	s_waitcnt lgkmcnt(0)
	s_and_b32 s3, s3, 0xffff
	v_mad_u64_u32 v[2:3], s[2:3], s3, v2, v[0:1]
	v_cmp_gt_i64_e32 vcc, s[4:5], v[2:3]
	s_and_saveexec_b64 s[2:3], vcc
	s_cbranch_execz .LBB12_2
; %bb.1:
	s_load_dwordx4 s[28:31], s[0:1], 0x0
	s_load_dwordx2 s[2:3], s[0:1], 0x10
	s_load_dwordx16 s[4:19], s[0:1], 0x40
	s_load_dwordx8 s[20:27], s[0:1], 0x88
	s_load_dword s33, s[0:1], 0xc0
	s_load_dwordx2 s[34:35], s[0:1], 0xb8
	s_load_dwordx4 s[36:39], s[0:1], 0xa8
	v_lshlrev_b32_e32 v8, 5, v2
	s_waitcnt lgkmcnt(0)
	v_mul_hi_u32 v0, s20, v8
	v_add_u32_e32 v0, v8, v0
	v_lshrrev_b32_e32 v9, s21, v0
	v_mul_hi_u32 v0, v9, s23
	v_add_u32_e32 v0, v9, v0
	v_lshrrev_b32_e32 v0, s24, v0
	v_mul_lo_u32 v2, v0, s25
	v_sub_u32_e32 v10, v9, v2
	v_mul_hi_u32 v2, v0, s26
	v_add_u32_e32 v2, v0, v2
	v_lshrrev_b32_e32 v36, s27, v2
	v_mul_lo_u32 v2, v36, s36
	v_sub_u32_e32 v38, v0, v2
	;; [unrolled: 5-line block ×3, first 2 shown]
	v_mul_hi_u32 v0, v38, s37
	v_add_u32_e32 v0, v38, v0
	v_lshrrev_b32_e32 v0, s38, v0
	v_mul_lo_u32 v0, v0, s39
	v_mad_u64_u32 v[2:3], s[20:21], s10, v10, 0
	v_sub_u32_e32 v6, v38, v0
	v_mov_b32_e32 v0, v3
	v_mad_u64_u32 v[4:5], s[10:11], s11, v10, v[0:1]
	v_mov_b32_e32 v3, v4
	v_mad_u64_u32 v[4:5], s[10:11], s12, v6, 0
	;; [unrolled: 2-line block ×3, first 2 shown]
	v_lshl_add_u64 v[2:3], v[2:3], 2, s[30:31]
	v_mov_b32_e32 v5, v6
	v_lshl_add_u64 v[2:3], v[4:5], 2, v[2:3]
	v_mad_u64_u32 v[4:5], s[10:11], s14, v11, 0
	v_mov_b32_e32 v0, v5
	v_mad_u64_u32 v[6:7], s[10:11], s15, v11, v[0:1]
	v_mov_b32_e32 v5, v6
	v_lshl_add_u64 v[2:3], v[4:5], 2, v[2:3]
	global_load_dword v40, v[2:3], off
	v_mad_u64_u32 v[2:3], s[10:11], s4, v10, 0
	v_mov_b32_e32 v4, v3
	v_mad_u64_u32 v[4:5], s[4:5], s5, v10, v[4:5]
	v_mov_b32_e32 v3, v4
	;; [unrolled: 2-line block ×3, first 2 shown]
	v_mad_u64_u32 v[6:7], s[4:5], s7, v38, v[6:7]
	v_lshl_add_u64 v[2:3], v[2:3], 2, s[28:29]
	v_mov_b32_e32 v5, v6
	v_lshl_add_u64 v[2:3], v[4:5], 2, v[2:3]
	v_mad_u64_u32 v[4:5], s[4:5], s8, v36, 0
	v_mov_b32_e32 v6, v5
	v_mad_u64_u32 v[6:7], s[4:5], s9, v36, v[6:7]
	v_mul_lo_u32 v0, v9, s22
	v_mov_b32_e32 v5, v6
	v_sub_u32_e32 v0, v8, v0
	v_lshl_add_u64 v[2:3], v[4:5], 2, v[2:3]
	v_lshl_add_u64 v[34:35], v[0:1], 2, v[2:3]
	global_load_dwordx4 v[26:29], v[34:35], off
	global_load_dwordx4 v[18:21], v[34:35], off offset:16
	global_load_dwordx4 v[10:13], v[34:35], off offset:32
	;; [unrolled: 1-line block ×7, first 2 shown]
	s_load_dwordx2 s[0:1], s[0:1], 0x80
	v_lshrrev_b32_e32 v44, 5, v0
	s_mov_b32 s6, 0x8e38e38f
	v_mov_b32_e32 v37, v1
	s_mov_b32 s7, 0xe38e38e3
	v_mov_b32_e32 v39, v1
	v_mov_b32_e32 v41, v1
	s_waitcnt vmcnt(8)
	v_ashrrev_i32_e32 v0, 31, v40
	v_mul_lo_u32 v42, s17, v40
	v_mad_u64_u32 v[34:35], s[4:5], s16, v40, 0
	v_mul_lo_u32 v0, s16, v0
	v_add3_u32 v35, v35, v0, v42
	s_waitcnt lgkmcnt(0)
	v_mad_u64_u32 v[34:35], s[4:5], s0, v36, v[34:35]
	v_mov_b32_e32 v0, v35
	v_mad_u64_u32 v[42:43], s[0:1], s1, v36, v[0:1]
	v_mov_b32_e32 v35, v42
	;; [unrolled: 2-line block ×3, first 2 shown]
	v_mul_hi_u32 v36, v34, s6
	v_mad_u64_u32 v[42:43], s[0:1], s19, v38, v[0:1]
	v_mad_u64_u32 v[36:37], s[0:1], v42, s6, v[36:37]
	v_mov_b32_e32 v38, v37
	v_mov_b32_e32 v37, v1
	v_mad_u64_u32 v[0:1], s[0:1], v34, s7, v[36:37]
	v_mov_b32_e32 v40, v1
	v_lshl_add_u64 v[0:1], v[38:39], 0, v[40:41]
	v_mad_u64_u32 v[0:1], s[0:1], v42, s7, v[0:1]
	v_alignbit_b32 v0, v1, v0, 4
	v_lshrrev_b32_e32 v35, 4, v1
	v_mad_u64_u32 v[0:1], s[0:1], v0, 18, s[2:3]
	v_mov_b32_e32 v34, v1
	v_mad_u64_u32 v[34:35], s[0:1], v35, 18, v[34:35]
	s_waitcnt vmcnt(7)
	v_cmp_lg_f32_e32 vcc, 0, v26
	v_mov_b32_e32 v1, v34
	v_mad_u64_u32 v[0:1], s[0:1], v44, 18, v[0:1]
	v_cndmask_b32_e64 v35, 0, |v26|, vcc
	v_cndmask_b32_e32 v34, 0, v26, vcc
	v_cmp_lt_f32_e64 vcc, v35, |v27|
	s_nop 1
	v_cndmask_b32_e64 v35, v35, |v27|, vcc
	v_cndmask_b32_e32 v34, v34, v27, vcc
	v_cmp_lt_f32_e64 vcc, v35, |v28|
	s_nop 1
	v_cndmask_b32_e64 v35, v35, |v28|, vcc
	v_cndmask_b32_e32 v34, v34, v28, vcc
	v_cmp_lt_f32_e64 vcc, v35, |v29|
	s_nop 1
	v_cndmask_b32_e64 v35, v35, |v29|, vcc
	v_cndmask_b32_e32 v34, v34, v29, vcc
	s_waitcnt vmcnt(6)
	v_cmp_lt_f32_e64 vcc, v35, |v18|
	s_nop 1
	v_cndmask_b32_e64 v35, v35, |v18|, vcc
	v_cndmask_b32_e32 v34, v34, v18, vcc
	v_cmp_lt_f32_e64 vcc, v35, |v19|
	s_nop 1
	v_cndmask_b32_e64 v35, v35, |v19|, vcc
	v_cndmask_b32_e32 v34, v34, v19, vcc
	v_cmp_lt_f32_e64 vcc, v35, |v20|
	s_nop 1
	v_cndmask_b32_e64 v35, v35, |v20|, vcc
	v_cndmask_b32_e32 v34, v34, v20, vcc
	v_cmp_lt_f32_e64 vcc, v35, |v21|
	s_nop 1
	v_cndmask_b32_e64 v35, v35, |v21|, vcc
	v_cndmask_b32_e32 v34, v34, v21, vcc
	s_waitcnt vmcnt(5)
	v_cmp_lt_f32_e64 vcc, v35, |v10|
	s_nop 1
	;; [unrolled: 17-line block ×4, first 2 shown]
	v_cndmask_b32_e64 v35, v35, |v30|, vcc
	v_cndmask_b32_e32 v34, v34, v30, vcc
	v_cmp_lt_f32_e64 vcc, v35, |v31|
	s_nop 1
	v_cndmask_b32_e64 v35, v35, |v31|, vcc
	v_cndmask_b32_e32 v34, v34, v31, vcc
	v_cmp_lt_f32_e64 vcc, v35, |v32|
	s_nop 1
	;; [unrolled: 4-line block ×15, first 2 shown]
	v_cndmask_b32_e32 v34, v34, v9, vcc
	v_mul_f32_e32 v35, 0xbe000000, v34
	v_div_scale_f32 v36, s[0:1], v35, v35, 1.0
	v_rcp_f32_e32 v37, v36
	s_mov_b32 s0, 0xbe000000
	v_fma_mixlo_f16 v34, v34, s0, 0
	global_store_short v[0:1], v34, off
	v_fma_f32 v38, -v36, v37, 1.0
	v_fmac_f32_e32 v37, v38, v37
	v_div_scale_f32 v38, vcc, 1.0, v35, 1.0
	v_mul_f32_e32 v39, v38, v37
	v_fma_f32 v40, -v36, v39, v38
	v_fmac_f32_e32 v39, v40, v37
	v_fma_f32 v36, -v36, v39, v38
	v_div_fmas_f32 v36, v36, v37, v39
	v_div_fixup_f32 v36, v36, v35, 1.0
	v_cmp_neq_f32_e32 vcc, 0, v35
	s_mov_b32 s0, 0
	s_mov_b32 s1, 0x402e0000
	v_cndmask_b32_e32 v36, 0, v36, vcc
	v_fmaak_f32 v26, v26, v36, 0x41080000
	v_cvt_i32_f32_e32 v26, v26
	v_fmaak_f32 v27, v27, v36, 0x41080000
	v_cvt_i32_f32_e32 v27, v27
	v_fmaak_f32 v28, v28, v36, 0x41080000
	v_cvt_f64_i32_e32 v[34:35], v26
	v_fmaak_f32 v26, v30, v36, 0x41080000
	v_cvt_i32_f32_e32 v26, v26
	v_min_f64 v[34:35], v[34:35], s[0:1]
	v_cvt_i32_f64_e32 v30, v[34:35]
	v_cvt_i32_f32_e32 v28, v28
	v_cvt_f64_i32_e32 v[34:35], v26
	v_min_f64 v[34:35], v[34:35], s[0:1]
	v_cvt_i32_f64_e32 v26, v[34:35]
	v_lshlrev_b16_e32 v26, 4, v26
	v_or_b32_e32 v26, v26, v30
	v_fmaak_f32 v30, v31, v36, 0x41080000
	v_cvt_i32_f32_e32 v34, v30
	v_cvt_f64_i32_e32 v[30:31], v27
	v_min_f64 v[30:31], v[30:31], s[0:1]
	v_cvt_i32_f64_e32 v27, v[30:31]
	v_cvt_f64_i32_e32 v[30:31], v34
	v_min_f64 v[30:31], v[30:31], s[0:1]
	v_cvt_i32_f64_e32 v34, v[30:31]
	v_fmaak_f32 v30, v32, v36, 0x41080000
	v_cvt_i32_f32_e32 v32, v30
	v_cvt_f64_i32_e32 v[30:31], v28
	v_min_f64 v[30:31], v[30:31], s[0:1]
	v_cvt_i32_f64_e32 v28, v[30:31]
	v_cvt_f64_i32_e32 v[30:31], v32
	v_min_f64 v[30:31], v[30:31], s[0:1]
	v_cvt_i32_f64_e32 v30, v[30:31]
	v_fmaak_f32 v29, v29, v36, 0x41080000
	v_lshlrev_b16_e32 v30, 4, v30
	v_cvt_i32_f32_e32 v29, v29
	v_or_b32_e32 v30, v30, v28
	v_fmaak_f32 v28, v33, v36, 0x41080000
	v_cvt_i32_f32_e32 v31, v28
	v_fmaak_f32 v18, v18, v36, 0x41080000
	v_cvt_f64_i32_e32 v[28:29], v29
	v_cvt_i32_f32_e32 v18, v18
	v_min_f64 v[28:29], v[28:29], s[0:1]
	v_fmaak_f32 v22, v22, v36, 0x41080000
	v_cvt_i32_f64_e32 v32, v[28:29]
	v_cvt_f64_i32_e32 v[28:29], v31
	v_cvt_i32_f32_e32 v22, v22
	v_min_f64 v[28:29], v[28:29], s[0:1]
	v_cvt_i32_f64_e32 v31, v[28:29]
	v_cvt_f64_i32_e32 v[28:29], v18
	v_min_f64 v[28:29], v[28:29], s[0:1]
	v_cvt_i32_f64_e32 v18, v[28:29]
	v_cvt_f64_i32_e32 v[28:29], v22
	v_min_f64 v[28:29], v[28:29], s[0:1]
	v_cvt_i32_f64_e32 v22, v[28:29]
	v_fmaak_f32 v19, v19, v36, 0x41080000
	v_lshlrev_b16_e32 v22, 4, v22
	v_cvt_i32_f32_e32 v19, v19
	v_or_b32_e32 v22, v22, v18
	v_fmaak_f32 v18, v23, v36, 0x41080000
	v_cvt_i32_f32_e32 v23, v18
	v_cvt_f64_i32_e32 v[18:19], v19
	v_min_f64 v[18:19], v[18:19], s[0:1]
	v_cvt_i32_f64_e32 v28, v[18:19]
	v_cvt_f64_i32_e32 v[18:19], v23
	v_fmaak_f32 v20, v20, v36, 0x41080000
	v_min_f64 v[18:19], v[18:19], s[0:1]
	v_cvt_i32_f32_e32 v20, v20
	v_cvt_i32_f64_e32 v23, v[18:19]
	v_fmaak_f32 v18, v24, v36, 0x41080000
	v_cvt_i32_f32_e32 v24, v18
	v_cvt_f64_i32_e32 v[18:19], v20
	v_min_f64 v[18:19], v[18:19], s[0:1]
	v_cvt_i32_f64_e32 v20, v[18:19]
	v_cvt_f64_i32_e32 v[18:19], v24
	v_min_f64 v[18:19], v[18:19], s[0:1]
	v_cvt_i32_f64_e32 v18, v[18:19]
	v_fmaak_f32 v19, v21, v36, 0x41080000
	v_lshlrev_b16_e32 v18, 4, v18
	v_cvt_i32_f32_e32 v19, v19
	v_or_b32_e32 v20, v18, v20
	v_fmaak_f32 v18, v25, v36, 0x41080000
	v_cvt_i32_f32_e32 v21, v18
	v_fmaak_f32 v10, v10, v36, 0x41080000
	v_cvt_f64_i32_e32 v[18:19], v19
	v_cvt_i32_f32_e32 v10, v10
	v_min_f64 v[18:19], v[18:19], s[0:1]
	v_fmaak_f32 v14, v14, v36, 0x41080000
	v_cvt_i32_f64_e32 v24, v[18:19]
	v_cvt_f64_i32_e32 v[18:19], v21
	v_cvt_i32_f32_e32 v14, v14
	v_min_f64 v[18:19], v[18:19], s[0:1]
	v_cvt_i32_f64_e32 v21, v[18:19]
	v_cvt_f64_i32_e32 v[18:19], v10
	v_min_f64 v[18:19], v[18:19], s[0:1]
	v_cvt_i32_f64_e32 v10, v[18:19]
	v_cvt_f64_i32_e32 v[18:19], v14
	v_min_f64 v[18:19], v[18:19], s[0:1]
	v_cvt_i32_f64_e32 v14, v[18:19]
	v_fmaak_f32 v11, v11, v36, 0x41080000
	v_lshlrev_b16_e32 v14, 4, v14
	v_cvt_i32_f32_e32 v11, v11
	v_or_b32_e32 v14, v14, v10
	v_fmaak_f32 v10, v15, v36, 0x41080000
	v_cvt_i32_f32_e32 v15, v10
	v_cvt_f64_i32_e32 v[10:11], v11
	v_min_f64 v[10:11], v[10:11], s[0:1]
	v_cvt_i32_f64_e32 v18, v[10:11]
	v_cvt_f64_i32_e32 v[10:11], v15
	v_fmaak_f32 v12, v12, v36, 0x41080000
	v_min_f64 v[10:11], v[10:11], s[0:1]
	v_cvt_i32_f32_e32 v12, v12
	;; [unrolled: 44-line block ×3, first 2 shown]
	v_cvt_i32_f64_e32 v7, v[2:3]
	v_fmaak_f32 v2, v8, v36, 0x41080000
	v_cvt_i32_f32_e32 v8, v2
	v_cvt_f64_i32_e32 v[2:3], v4
	v_min_f64 v[2:3], v[2:3], s[0:1]
	v_cvt_i32_f64_e32 v4, v[2:3]
	v_cvt_f64_i32_e32 v[2:3], v8
	v_min_f64 v[2:3], v[2:3], s[0:1]
	v_cvt_i32_f64_e32 v2, v[2:3]
	v_fmaak_f32 v3, v5, v36, 0x41080000
	v_mov_b32_e32 v37, 0x41080000
	v_cvt_i32_f32_e32 v3, v3
	v_fmac_f32_e32 v37, v9, v36
	v_cvt_i32_f32_e32 v5, v37
	v_lshlrev_b16_e32 v2, 4, v2
	v_or_b32_e32 v4, v2, v4
	v_cvt_f64_i32_e32 v[2:3], v3
	v_min_f64 v[2:3], v[2:3], s[0:1]
	v_cvt_i32_f64_e32 v8, v[2:3]
	v_cvt_f64_i32_e32 v[2:3], v5
	v_min_f64 v[2:3], v[2:3], s[0:1]
	v_cvt_i32_f64_e32 v2, v[2:3]
	v_lshlrev_b16_e32 v3, 8, v10
	v_lshlrev_b16_e32 v5, 12, v7
	v_or_b32_e32 v3, v5, v3
	v_lshlrev_b16_e32 v5, 8, v8
	v_lshlrev_b16_e32 v2, 12, v2
	s_movk_i32 s0, 0xff
	v_or_b32_e32 v2, v2, v5
	v_bitop3_b16 v2, v4, v2, s0 bitop3:0xec
	v_bitop3_b16 v3, v6, v3, s0 bitop3:0xec
	v_lshlrev_b32_e32 v2, 16, v2
	v_or_b32_sdwa v5, v3, v2 dst_sel:DWORD dst_unused:UNUSED_PAD src0_sel:WORD_0 src1_sel:DWORD
	v_lshlrev_b16_e32 v2, 8, v18
	v_lshlrev_b16_e32 v3, 12, v15
	v_or_b32_e32 v2, v3, v2
	v_lshlrev_b16_e32 v3, 8, v16
	v_lshlrev_b16_e32 v4, 12, v13
	v_or_b32_e32 v3, v4, v3
	v_bitop3_b16 v3, v12, v3, s0 bitop3:0xec
	v_bitop3_b16 v2, v14, v2, s0 bitop3:0xec
	v_lshlrev_b32_e32 v3, 16, v3
	v_or_b32_sdwa v4, v2, v3 dst_sel:DWORD dst_unused:UNUSED_PAD src0_sel:WORD_0 src1_sel:DWORD
	v_lshlrev_b16_e32 v2, 8, v28
	v_lshlrev_b16_e32 v3, 12, v23
	v_or_b32_e32 v2, v3, v2
	v_lshlrev_b16_e32 v3, 8, v24
	v_lshlrev_b16_e32 v6, 12, v21
	;; [unrolled: 10-line block ×3, first 2 shown]
	v_or_b32_e32 v6, v7, v6
	v_bitop3_b16 v6, v30, v6, s0 bitop3:0xec
	v_bitop3_b16 v2, v26, v2, s0 bitop3:0xec
	v_lshlrev_b32_e32 v6, 16, v6
	v_or_b32_sdwa v2, v2, v6 dst_sel:DWORD dst_unused:UNUSED_PAD src0_sel:WORD_0 src1_sel:DWORD
	global_store_dwordx4 v[0:1], v[2:5], off offset:2
.LBB12_2:
	s_endpgm
	.section	.rodata,"a",@progbits
	.p2align	6, 0x0
	.amdhsa_kernel _ZL16k_set_rows_quantIi10block_q4_0Li32ETnPFvPKfPT0_EXadL_ZL23quantize_f32_q4_0_blockS2_PS0_EEEvS2_PKT_S4_llllllllllllll15HIP_vector_typeIjLj3EESC_SC_SC_SC_
		.amdhsa_group_segment_fixed_size 0
		.amdhsa_private_segment_fixed_size 0
		.amdhsa_kernarg_size 456
		.amdhsa_user_sgpr_count 2
		.amdhsa_user_sgpr_dispatch_ptr 0
		.amdhsa_user_sgpr_queue_ptr 0
		.amdhsa_user_sgpr_kernarg_segment_ptr 1
		.amdhsa_user_sgpr_dispatch_id 0
		.amdhsa_user_sgpr_kernarg_preload_length 0
		.amdhsa_user_sgpr_kernarg_preload_offset 0
		.amdhsa_user_sgpr_private_segment_size 0
		.amdhsa_uses_dynamic_stack 0
		.amdhsa_enable_private_segment 0
		.amdhsa_system_sgpr_workgroup_id_x 1
		.amdhsa_system_sgpr_workgroup_id_y 0
		.amdhsa_system_sgpr_workgroup_id_z 0
		.amdhsa_system_sgpr_workgroup_info 0
		.amdhsa_system_vgpr_workitem_id 0
		.amdhsa_next_free_vgpr 45
		.amdhsa_next_free_sgpr 40
		.amdhsa_accum_offset 48
		.amdhsa_reserve_vcc 1
		.amdhsa_float_round_mode_32 0
		.amdhsa_float_round_mode_16_64 0
		.amdhsa_float_denorm_mode_32 3
		.amdhsa_float_denorm_mode_16_64 3
		.amdhsa_dx10_clamp 1
		.amdhsa_ieee_mode 1
		.amdhsa_fp16_overflow 0
		.amdhsa_tg_split 0
		.amdhsa_exception_fp_ieee_invalid_op 0
		.amdhsa_exception_fp_denorm_src 0
		.amdhsa_exception_fp_ieee_div_zero 0
		.amdhsa_exception_fp_ieee_overflow 0
		.amdhsa_exception_fp_ieee_underflow 0
		.amdhsa_exception_fp_ieee_inexact 0
		.amdhsa_exception_int_div_zero 0
	.end_amdhsa_kernel
	.section	.text._ZL16k_set_rows_quantIi10block_q4_0Li32ETnPFvPKfPT0_EXadL_ZL23quantize_f32_q4_0_blockS2_PS0_EEEvS2_PKT_S4_llllllllllllll15HIP_vector_typeIjLj3EESC_SC_SC_SC_,"axG",@progbits,_ZL16k_set_rows_quantIi10block_q4_0Li32ETnPFvPKfPT0_EXadL_ZL23quantize_f32_q4_0_blockS2_PS0_EEEvS2_PKT_S4_llllllllllllll15HIP_vector_typeIjLj3EESC_SC_SC_SC_,comdat
.Lfunc_end12:
	.size	_ZL16k_set_rows_quantIi10block_q4_0Li32ETnPFvPKfPT0_EXadL_ZL23quantize_f32_q4_0_blockS2_PS0_EEEvS2_PKT_S4_llllllllllllll15HIP_vector_typeIjLj3EESC_SC_SC_SC_, .Lfunc_end12-_ZL16k_set_rows_quantIi10block_q4_0Li32ETnPFvPKfPT0_EXadL_ZL23quantize_f32_q4_0_blockS2_PS0_EEEvS2_PKT_S4_llllllllllllll15HIP_vector_typeIjLj3EESC_SC_SC_SC_
                                        ; -- End function
	.set _ZL16k_set_rows_quantIi10block_q4_0Li32ETnPFvPKfPT0_EXadL_ZL23quantize_f32_q4_0_blockS2_PS0_EEEvS2_PKT_S4_llllllllllllll15HIP_vector_typeIjLj3EESC_SC_SC_SC_.num_vgpr, 45
	.set _ZL16k_set_rows_quantIi10block_q4_0Li32ETnPFvPKfPT0_EXadL_ZL23quantize_f32_q4_0_blockS2_PS0_EEEvS2_PKT_S4_llllllllllllll15HIP_vector_typeIjLj3EESC_SC_SC_SC_.num_agpr, 0
	.set _ZL16k_set_rows_quantIi10block_q4_0Li32ETnPFvPKfPT0_EXadL_ZL23quantize_f32_q4_0_blockS2_PS0_EEEvS2_PKT_S4_llllllllllllll15HIP_vector_typeIjLj3EESC_SC_SC_SC_.numbered_sgpr, 40
	.set _ZL16k_set_rows_quantIi10block_q4_0Li32ETnPFvPKfPT0_EXadL_ZL23quantize_f32_q4_0_blockS2_PS0_EEEvS2_PKT_S4_llllllllllllll15HIP_vector_typeIjLj3EESC_SC_SC_SC_.num_named_barrier, 0
	.set _ZL16k_set_rows_quantIi10block_q4_0Li32ETnPFvPKfPT0_EXadL_ZL23quantize_f32_q4_0_blockS2_PS0_EEEvS2_PKT_S4_llllllllllllll15HIP_vector_typeIjLj3EESC_SC_SC_SC_.private_seg_size, 0
	.set _ZL16k_set_rows_quantIi10block_q4_0Li32ETnPFvPKfPT0_EXadL_ZL23quantize_f32_q4_0_blockS2_PS0_EEEvS2_PKT_S4_llllllllllllll15HIP_vector_typeIjLj3EESC_SC_SC_SC_.uses_vcc, 1
	.set _ZL16k_set_rows_quantIi10block_q4_0Li32ETnPFvPKfPT0_EXadL_ZL23quantize_f32_q4_0_blockS2_PS0_EEEvS2_PKT_S4_llllllllllllll15HIP_vector_typeIjLj3EESC_SC_SC_SC_.uses_flat_scratch, 0
	.set _ZL16k_set_rows_quantIi10block_q4_0Li32ETnPFvPKfPT0_EXadL_ZL23quantize_f32_q4_0_blockS2_PS0_EEEvS2_PKT_S4_llllllllllllll15HIP_vector_typeIjLj3EESC_SC_SC_SC_.has_dyn_sized_stack, 0
	.set _ZL16k_set_rows_quantIi10block_q4_0Li32ETnPFvPKfPT0_EXadL_ZL23quantize_f32_q4_0_blockS2_PS0_EEEvS2_PKT_S4_llllllllllllll15HIP_vector_typeIjLj3EESC_SC_SC_SC_.has_recursion, 0
	.set _ZL16k_set_rows_quantIi10block_q4_0Li32ETnPFvPKfPT0_EXadL_ZL23quantize_f32_q4_0_blockS2_PS0_EEEvS2_PKT_S4_llllllllllllll15HIP_vector_typeIjLj3EESC_SC_SC_SC_.has_indirect_call, 0
	.section	.AMDGPU.csdata,"",@progbits
; Kernel info:
; codeLenInByte = 2840
; TotalNumSgprs: 46
; NumVgprs: 45
; NumAgprs: 0
; TotalNumVgprs: 45
; ScratchSize: 0
; MemoryBound: 0
; FloatMode: 240
; IeeeMode: 1
; LDSByteSize: 0 bytes/workgroup (compile time only)
; SGPRBlocks: 5
; VGPRBlocks: 5
; NumSGPRsForWavesPerEU: 46
; NumVGPRsForWavesPerEU: 45
; AccumOffset: 48
; Occupancy: 8
; WaveLimiterHint : 1
; COMPUTE_PGM_RSRC2:SCRATCH_EN: 0
; COMPUTE_PGM_RSRC2:USER_SGPR: 2
; COMPUTE_PGM_RSRC2:TRAP_HANDLER: 0
; COMPUTE_PGM_RSRC2:TGID_X_EN: 1
; COMPUTE_PGM_RSRC2:TGID_Y_EN: 0
; COMPUTE_PGM_RSRC2:TGID_Z_EN: 0
; COMPUTE_PGM_RSRC2:TIDIG_COMP_CNT: 0
; COMPUTE_PGM_RSRC3_GFX90A:ACCUM_OFFSET: 11
; COMPUTE_PGM_RSRC3_GFX90A:TG_SPLIT: 0
	.section	.text._ZL16k_set_rows_quantIi10block_q4_1Li32ETnPFvPKfPT0_EXadL_ZL23quantize_f32_q4_1_blockS2_PS0_EEEvS2_PKT_S4_llllllllllllll15HIP_vector_typeIjLj3EESC_SC_SC_SC_,"axG",@progbits,_ZL16k_set_rows_quantIi10block_q4_1Li32ETnPFvPKfPT0_EXadL_ZL23quantize_f32_q4_1_blockS2_PS0_EEEvS2_PKT_S4_llllllllllllll15HIP_vector_typeIjLj3EESC_SC_SC_SC_,comdat
	.globl	_ZL16k_set_rows_quantIi10block_q4_1Li32ETnPFvPKfPT0_EXadL_ZL23quantize_f32_q4_1_blockS2_PS0_EEEvS2_PKT_S4_llllllllllllll15HIP_vector_typeIjLj3EESC_SC_SC_SC_ ; -- Begin function _ZL16k_set_rows_quantIi10block_q4_1Li32ETnPFvPKfPT0_EXadL_ZL23quantize_f32_q4_1_blockS2_PS0_EEEvS2_PKT_S4_llllllllllllll15HIP_vector_typeIjLj3EESC_SC_SC_SC_
	.p2align	8
	.type	_ZL16k_set_rows_quantIi10block_q4_1Li32ETnPFvPKfPT0_EXadL_ZL23quantize_f32_q4_1_blockS2_PS0_EEEvS2_PKT_S4_llllllllllllll15HIP_vector_typeIjLj3EESC_SC_SC_SC_,@function
_ZL16k_set_rows_quantIi10block_q4_1Li32ETnPFvPKfPT0_EXadL_ZL23quantize_f32_q4_1_blockS2_PS0_EEEvS2_PKT_S4_llllllllllllll15HIP_vector_typeIjLj3EESC_SC_SC_SC_: ; @_ZL16k_set_rows_quantIi10block_q4_1Li32ETnPFvPKfPT0_EXadL_ZL23quantize_f32_q4_1_blockS2_PS0_EEEvS2_PKT_S4_llllllllllllll15HIP_vector_typeIjLj3EESC_SC_SC_SC_
; %bb.0:
	s_load_dword s3, s[0:1], 0xd4
	s_load_dwordx2 s[4:5], s[0:1], 0x18
	v_mov_b32_e32 v1, 0
	v_mov_b32_e32 v2, s2
	s_waitcnt lgkmcnt(0)
	s_and_b32 s3, s3, 0xffff
	v_mad_u64_u32 v[2:3], s[2:3], s3, v2, v[0:1]
	v_cmp_gt_i64_e32 vcc, s[4:5], v[2:3]
	s_and_saveexec_b64 s[2:3], vcc
	s_cbranch_execz .LBB13_2
; %bb.1:
	s_load_dwordx4 s[28:31], s[0:1], 0x0
	s_load_dwordx2 s[2:3], s[0:1], 0x10
	s_load_dwordx16 s[4:19], s[0:1], 0x40
	s_load_dwordx8 s[20:27], s[0:1], 0x88
	s_load_dword s33, s[0:1], 0xc0
	s_load_dwordx2 s[34:35], s[0:1], 0xb8
	s_load_dwordx4 s[36:39], s[0:1], 0xa8
	v_lshlrev_b32_e32 v8, 5, v2
	s_waitcnt lgkmcnt(0)
	v_mul_hi_u32 v0, s20, v8
	v_add_u32_e32 v0, v8, v0
	v_lshrrev_b32_e32 v9, s21, v0
	v_mul_hi_u32 v0, v9, s23
	v_add_u32_e32 v0, v9, v0
	v_lshrrev_b32_e32 v0, s24, v0
	v_mul_lo_u32 v2, v0, s25
	v_sub_u32_e32 v10, v9, v2
	v_mul_hi_u32 v2, v0, s26
	v_add_u32_e32 v2, v0, v2
	v_lshrrev_b32_e32 v12, s27, v2
	v_mul_lo_u32 v2, v12, s36
	v_sub_u32_e32 v18, v0, v2
	;; [unrolled: 5-line block ×3, first 2 shown]
	v_mul_hi_u32 v0, v18, s37
	v_add_u32_e32 v0, v18, v0
	v_lshrrev_b32_e32 v0, s38, v0
	v_mul_lo_u32 v0, v0, s39
	v_mad_u64_u32 v[2:3], s[20:21], s10, v10, 0
	v_sub_u32_e32 v6, v18, v0
	v_mov_b32_e32 v0, v3
	v_mad_u64_u32 v[4:5], s[10:11], s11, v10, v[0:1]
	v_mov_b32_e32 v3, v4
	v_mad_u64_u32 v[4:5], s[10:11], s12, v6, 0
	;; [unrolled: 2-line block ×3, first 2 shown]
	v_lshl_add_u64 v[2:3], v[2:3], 2, s[30:31]
	v_mov_b32_e32 v5, v6
	v_lshl_add_u64 v[2:3], v[4:5], 2, v[2:3]
	v_mad_u64_u32 v[4:5], s[10:11], s14, v11, 0
	v_mov_b32_e32 v0, v5
	v_mad_u64_u32 v[6:7], s[10:11], s15, v11, v[0:1]
	v_mov_b32_e32 v5, v6
	v_lshl_add_u64 v[2:3], v[4:5], 2, v[2:3]
	global_load_dword v20, v[2:3], off
	v_mad_u64_u32 v[2:3], s[10:11], s4, v10, 0
	v_mov_b32_e32 v4, v3
	v_mad_u64_u32 v[4:5], s[4:5], s5, v10, v[4:5]
	v_mov_b32_e32 v3, v4
	;; [unrolled: 2-line block ×3, first 2 shown]
	v_mad_u64_u32 v[6:7], s[4:5], s7, v18, v[6:7]
	v_lshl_add_u64 v[2:3], v[2:3], 2, s[28:29]
	v_mov_b32_e32 v5, v6
	v_lshl_add_u64 v[2:3], v[4:5], 2, v[2:3]
	v_mad_u64_u32 v[4:5], s[4:5], s8, v12, 0
	v_mov_b32_e32 v6, v5
	v_mad_u64_u32 v[6:7], s[4:5], s9, v12, v[6:7]
	v_mul_lo_u32 v0, v9, s22
	v_mov_b32_e32 v5, v6
	v_sub_u32_e32 v0, v8, v0
	v_lshl_add_u64 v[2:3], v[4:5], 2, v[2:3]
	v_lshl_add_u64 v[38:39], v[0:1], 2, v[2:3]
	global_load_dwordx4 v[22:25], v[38:39], off
	global_load_dwordx4 v[14:17], v[38:39], off offset:16
	global_load_dwordx4 v[2:5], v[38:39], off offset:48
	;; [unrolled: 1-line block ×3, first 2 shown]
	s_load_dwordx2 s[0:1], s[0:1], 0x80
	v_mov_b32_e32 v11, v1
	global_load_dwordx4 v[26:29], v[38:39], off offset:80
	global_load_dwordx4 v[30:33], v[38:39], off offset:64
	s_mov_b32 s6, 0xcccccccd
	v_mov_b32_e32 v13, v1
	s_mov_b32 s7, 0xcccccccc
	v_mov_b32_e32 v19, v1
	s_mov_b32 s9, 0xff7fffff
	s_mov_b32 s8, 0x7f7fffff
	v_mov_b32_e32 v37, 0xff7fffff
	v_lshrrev_b32_e32 v0, 5, v0
	s_waitcnt vmcnt(6)
	v_ashrrev_i32_e32 v10, 31, v20
	v_mul_lo_u32 v34, s17, v20
	v_mad_u64_u32 v[20:21], s[4:5], s16, v20, 0
	v_mul_lo_u32 v10, s16, v10
	v_add3_u32 v21, v21, v10, v34
	s_waitcnt lgkmcnt(0)
	v_mad_u64_u32 v[20:21], s[4:5], s0, v12, v[20:21]
	v_mov_b32_e32 v10, v21
	v_mad_u64_u32 v[34:35], s[0:1], s1, v12, v[10:11]
	v_mov_b32_e32 v21, v34
	;; [unrolled: 2-line block ×3, first 2 shown]
	v_mul_hi_u32 v10, v20, s6
	v_mad_u64_u32 v[34:35], s[0:1], s19, v18, v[12:13]
	v_mad_u64_u32 v[10:11], s[0:1], v34, s6, v[10:11]
	v_mov_b32_e32 v12, v11
	v_mov_b32_e32 v11, v1
	v_mad_u64_u32 v[10:11], s[0:1], v20, s7, v[10:11]
	v_mov_b32_e32 v18, v11
	v_lshl_add_u64 v[10:11], v[12:13], 0, v[18:19]
	v_mad_u64_u32 v[10:11], s[0:1], v34, s7, v[10:11]
	v_alignbit_b32 v1, v11, v10, 4
	s_waitcnt vmcnt(5)
	v_cmp_lt_f32_e32 vcc, s9, v22
	v_mad_u64_u32 v[34:35], s[0:1], v1, 20, s[2:3]
	s_nop 0
	v_cndmask_b32_e32 v1, v37, v22, vcc
	v_mov_b32_e32 v10, 0x7f7fffff
	v_cmp_gt_f32_e32 vcc, s8, v22
	v_lshrrev_b32_e32 v40, 4, v11
	v_mov_b32_e32 v36, v35
	v_cndmask_b32_e32 v10, v10, v22, vcc
	v_cmp_gt_f32_e32 vcc, v23, v1
	s_mov_b32 s2, 0x41700000
	s_nop 0
	v_cndmask_b32_e32 v1, v1, v23, vcc
	v_cmp_gt_f32_e32 vcc, v10, v23
	s_nop 1
	v_cndmask_b32_e32 v10, v10, v23, vcc
	v_cmp_gt_f32_e32 vcc, v24, v1
	s_nop 1
	v_cndmask_b32_e32 v1, v1, v24, vcc
	v_cmp_gt_f32_e32 vcc, v10, v24
	s_nop 1
	v_cndmask_b32_e32 v10, v10, v24, vcc
	v_cmp_gt_f32_e32 vcc, v25, v1
	s_nop 1
	v_cndmask_b32_e32 v1, v1, v25, vcc
	v_cmp_gt_f32_e32 vcc, v10, v25
	s_nop 1
	v_cndmask_b32_e32 v35, v10, v25, vcc
	global_load_dwordx4 v[10:13], v[38:39], off offset:112
	global_load_dwordx4 v[18:21], v[38:39], off offset:96
	s_waitcnt vmcnt(6)
	v_cmp_gt_f32_e32 vcc, v14, v1
	s_nop 1
	v_cndmask_b32_e32 v1, v1, v14, vcc
	v_cmp_gt_f32_e32 vcc, v35, v14
	s_nop 1
	v_cndmask_b32_e32 v35, v35, v14, vcc
	;; [unrolled: 3-line block ×8, first 2 shown]
	s_waitcnt vmcnt(4)
	v_cmp_gt_f32_e32 vcc, v6, v1
	s_nop 1
	v_cndmask_b32_e32 v1, v1, v6, vcc
	v_cmp_gt_f32_e32 vcc, v35, v6
	s_nop 1
	v_cndmask_b32_e32 v35, v35, v6, vcc
	;; [unrolled: 3-line block ×3, first 2 shown]
	v_cmp_lt_f32_e32 vcc, v7, v35
	s_nop 1
	v_cndmask_b32_e32 v35, v35, v7, vcc
	v_cmp_gt_f32_e32 vcc, v8, v1
	s_nop 1
	v_cndmask_b32_e32 v1, v1, v8, vcc
	v_cmp_gt_f32_e32 vcc, v35, v8
	;; [unrolled: 3-line block ×12, first 2 shown]
	s_nop 1
	v_cndmask_b32_e32 v35, v35, v5, vcc
	s_waitcnt vmcnt(2)
	v_cmp_gt_f32_e32 vcc, v30, v1
	s_nop 1
	v_cndmask_b32_e32 v1, v1, v30, vcc
	v_cmp_gt_f32_e32 vcc, v35, v30
	s_nop 1
	v_cndmask_b32_e32 v35, v35, v30, vcc
	;; [unrolled: 3-line block ×8, first 2 shown]
	v_cmp_lt_f32_e32 vcc, v26, v35
	s_nop 1
	v_cndmask_b32_e32 v35, v35, v26, vcc
	v_cmp_gt_f32_e32 vcc, v26, v1
	s_nop 1
	v_cndmask_b32_e32 v1, v1, v26, vcc
	v_cmp_gt_f32_e32 vcc, v35, v27
	;; [unrolled: 3-line block ×7, first 2 shown]
	s_nop 1
	v_cndmask_b32_e32 v1, v1, v29, vcc
	s_waitcnt vmcnt(0)
	v_cmp_gt_f32_e32 vcc, v35, v18
	s_nop 1
	v_cndmask_b32_e32 v35, v35, v18, vcc
	v_cmp_gt_f32_e32 vcc, v18, v1
	s_nop 1
	v_cndmask_b32_e32 v1, v1, v18, vcc
	;; [unrolled: 3-line block ×15, first 2 shown]
	v_cmp_gt_f32_e32 vcc, v13, v1
	v_mad_u64_u32 v[38:39], s[0:1], v40, 20, v[36:37]
	s_nop 0
	v_cndmask_b32_e32 v1, v1, v13, vcc
	v_sub_f32_e32 v1, v1, v37
	v_div_scale_f32 v41, s[0:1], s2, s2, v1
	v_rcp_f32_e32 v42, v41
	v_mov_b32_e32 v35, v38
	v_sub_f32_e32 v22, v22, v37
	v_sub_f32_e32 v30, v30, v37
	v_fma_f32 v36, -v41, v42, 1.0
	v_fmac_f32_e32 v42, v36, v42
	v_div_scale_f32 v36, vcc, v1, s2, v1
	v_mul_f32_e32 v38, v36, v42
	v_fma_f32 v39, -v41, v38, v36
	v_fmac_f32_e32 v38, v39, v42
	v_fma_f32 v36, -v41, v38, v36
	v_div_fmas_f32 v36, v36, v42, v38
	v_div_fixup_f32 v36, v36, s2, v1
	v_div_scale_f32 v38, s[0:1], v36, v36, 1.0
	v_rcp_f32_e32 v39, v38
	v_mad_u64_u32 v[0:1], s[0:1], v0, 20, v[34:35]
	s_mov_b32 s0, 0
	v_fma_f32 v34, -v38, v39, 1.0
	v_fmac_f32_e32 v39, v34, v39
	v_div_scale_f32 v34, vcc, 1.0, v36, 1.0
	v_mul_f32_e32 v35, v34, v39
	v_fma_f32 v40, -v38, v35, v34
	v_fmac_f32_e32 v35, v40, v39
	v_fma_f32 v34, -v38, v35, v34
	v_div_fmas_f32 v34, v34, v39, v35
	v_div_fixup_f32 v34, v34, v36, 1.0
	v_cmp_neq_f32_e32 vcc, 0, v36
	s_mov_b32 s1, 0x402e0000
	v_sub_f32_e32 v23, v23, v37
	v_cndmask_b32_e32 v34, 0, v34, vcc
	v_fma_f32 v22, v22, v34, 0.5
	v_cvt_i32_f32_e32 v22, v22
	v_fma_f32 v23, v23, v34, 0.5
	v_cvt_i32_f32_e32 v23, v23
	v_cvt_pk_f16_f32 v35, v36, v37
	v_cvt_f64_i32_e32 v[38:39], v22
	v_fma_f32 v22, v30, v34, 0.5
	v_cvt_i32_f32_e32 v22, v22
	v_min_f64 v[38:39], v[38:39], s[0:1]
	v_cvt_i32_f64_e32 v30, v[38:39]
	global_store_dword v[0:1], v35, off
	v_cvt_f64_i32_e32 v[38:39], v22
	v_min_f64 v[38:39], v[38:39], s[0:1]
	v_cvt_i32_f64_e32 v22, v[38:39]
	v_lshlrev_b16_e32 v22, 4, v22
	v_or_b32_e32 v22, v22, v30
	v_sub_f32_e32 v30, v31, v37
	v_fma_f32 v30, v30, v34, 0.5
	v_cvt_i32_f32_e32 v35, v30
	v_cvt_f64_i32_e32 v[30:31], v23
	v_min_f64 v[30:31], v[30:31], s[0:1]
	v_cvt_i32_f64_e32 v23, v[30:31]
	v_cvt_f64_i32_e32 v[30:31], v35
	v_sub_f32_e32 v24, v24, v37
	v_min_f64 v[30:31], v[30:31], s[0:1]
	v_fma_f32 v24, v24, v34, 0.5
	v_cvt_i32_f64_e32 v30, v[30:31]
	v_cvt_i32_f32_e32 v24, v24
	v_sub_f32_e32 v31, v32, v37
	v_fma_f32 v31, v31, v34, 0.5
	v_cvt_i32_f32_e32 v31, v31
	v_cvt_f64_i32_e32 v[38:39], v24
	v_min_f64 v[38:39], v[38:39], s[0:1]
	v_cvt_i32_f64_e32 v24, v[38:39]
	v_cvt_f64_i32_e32 v[38:39], v31
	v_min_f64 v[38:39], v[38:39], s[0:1]
	v_cvt_i32_f64_e32 v31, v[38:39]
	v_sub_f32_e32 v25, v25, v37
	v_lshlrev_b16_e32 v31, 4, v31
	v_fma_f32 v25, v25, v34, 0.5
	v_or_b32_e32 v24, v31, v24
	v_cvt_i32_f32_e32 v25, v25
	v_sub_f32_e32 v31, v33, v37
	v_fma_f32 v31, v31, v34, 0.5
	v_cvt_i32_f32_e32 v31, v31
	v_sub_f32_e32 v14, v14, v37
	v_fma_f32 v14, v14, v34, 0.5
	v_cvt_f64_i32_e32 v[32:33], v25
	v_cvt_i32_f32_e32 v14, v14
	v_sub_f32_e32 v26, v26, v37
	v_min_f64 v[32:33], v[32:33], s[0:1]
	v_fma_f32 v26, v26, v34, 0.5
	v_cvt_i32_f64_e32 v25, v[32:33]
	v_cvt_f64_i32_e32 v[32:33], v31
	v_cvt_i32_f32_e32 v26, v26
	v_min_f64 v[32:33], v[32:33], s[0:1]
	v_cvt_i32_f64_e32 v31, v[32:33]
	v_cvt_f64_i32_e32 v[32:33], v14
	v_min_f64 v[32:33], v[32:33], s[0:1]
	v_cvt_i32_f64_e32 v14, v[32:33]
	v_cvt_f64_i32_e32 v[32:33], v26
	v_min_f64 v[32:33], v[32:33], s[0:1]
	v_cvt_i32_f64_e32 v26, v[32:33]
	v_lshlrev_b16_e32 v26, 4, v26
	v_or_b32_e32 v26, v26, v14
	v_sub_f32_e32 v14, v15, v37
	v_fma_f32 v14, v14, v34, 0.5
	v_cvt_i32_f32_e32 v14, v14
	v_sub_f32_e32 v15, v27, v37
	v_fma_f32 v15, v15, v34, 0.5
	v_cvt_i32_f32_e32 v27, v15
	v_cvt_f64_i32_e32 v[14:15], v14
	v_min_f64 v[14:15], v[14:15], s[0:1]
	v_cvt_i32_f64_e32 v32, v[14:15]
	v_cvt_f64_i32_e32 v[14:15], v27
	v_min_f64 v[14:15], v[14:15], s[0:1]
	v_cvt_i32_f64_e32 v27, v[14:15]
	v_sub_f32_e32 v14, v16, v37
	v_fma_f32 v14, v14, v34, 0.5
	v_cvt_i32_f32_e32 v14, v14
	v_sub_f32_e32 v15, v28, v37
	v_fma_f32 v15, v15, v34, 0.5
	v_cvt_i32_f32_e32 v16, v15
	v_cvt_f64_i32_e32 v[14:15], v14
	v_min_f64 v[14:15], v[14:15], s[0:1]
	v_cvt_i32_f64_e32 v28, v[14:15]
	v_cvt_f64_i32_e32 v[14:15], v16
	v_min_f64 v[14:15], v[14:15], s[0:1]
	v_cvt_i32_f64_e32 v14, v[14:15]
	v_lshlrev_b16_e32 v14, 4, v14
	v_or_b32_e32 v16, v14, v28
	v_sub_f32_e32 v14, v17, v37
	v_fma_f32 v14, v14, v34, 0.5
	v_cvt_i32_f32_e32 v14, v14
	v_sub_f32_e32 v15, v29, v37
	v_fma_f32 v15, v15, v34, 0.5
	v_cvt_i32_f32_e32 v17, v15
	v_cvt_f64_i32_e32 v[14:15], v14
	v_min_f64 v[14:15], v[14:15], s[0:1]
	v_cvt_i32_f64_e32 v28, v[14:15]
	v_cvt_f64_i32_e32 v[14:15], v17
	v_sub_f32_e32 v6, v6, v37
	v_min_f64 v[14:15], v[14:15], s[0:1]
	v_fma_f32 v6, v6, v34, 0.5
	v_cvt_i32_f64_e32 v17, v[14:15]
	v_cvt_i32_f32_e32 v6, v6
	v_sub_f32_e32 v14, v18, v37
	v_fma_f32 v14, v14, v34, 0.5
	v_cvt_i32_f32_e32 v18, v14
	v_cvt_f64_i32_e32 v[14:15], v6
	v_min_f64 v[14:15], v[14:15], s[0:1]
	v_cvt_i32_f64_e32 v6, v[14:15]
	v_cvt_f64_i32_e32 v[14:15], v18
	v_min_f64 v[14:15], v[14:15], s[0:1]
	v_cvt_i32_f64_e32 v14, v[14:15]
	v_lshlrev_b16_e32 v14, 4, v14
	v_or_b32_e32 v14, v14, v6
	v_sub_f32_e32 v6, v7, v37
	v_fma_f32 v6, v6, v34, 0.5
	v_cvt_i32_f32_e32 v6, v6
	v_sub_f32_e32 v7, v19, v37
	v_fma_f32 v7, v7, v34, 0.5
	v_cvt_i32_f32_e32 v15, v7
	v_cvt_f64_i32_e32 v[6:7], v6
	v_min_f64 v[6:7], v[6:7], s[0:1]
	v_cvt_i32_f64_e32 v18, v[6:7]
	v_cvt_f64_i32_e32 v[6:7], v15
	v_min_f64 v[6:7], v[6:7], s[0:1]
	v_cvt_i32_f64_e32 v15, v[6:7]
	v_sub_f32_e32 v6, v8, v37
	v_fma_f32 v6, v6, v34, 0.5
	v_cvt_i32_f32_e32 v6, v6
	v_sub_f32_e32 v7, v20, v37
	v_fma_f32 v7, v7, v34, 0.5
	v_cvt_i32_f32_e32 v8, v7
	v_cvt_f64_i32_e32 v[6:7], v6
	v_min_f64 v[6:7], v[6:7], s[0:1]
	v_cvt_i32_f64_e32 v19, v[6:7]
	v_cvt_f64_i32_e32 v[6:7], v8
	v_min_f64 v[6:7], v[6:7], s[0:1]
	v_cvt_i32_f64_e32 v6, v[6:7]
	v_lshlrev_b16_e32 v6, 4, v6
	v_or_b32_e32 v8, v6, v19
	v_sub_f32_e32 v6, v9, v37
	v_fma_f32 v6, v6, v34, 0.5
	v_cvt_i32_f32_e32 v6, v6
	v_sub_f32_e32 v7, v21, v37
	v_fma_f32 v7, v7, v34, 0.5
	v_cvt_i32_f32_e32 v9, v7
	v_cvt_f64_i32_e32 v[6:7], v6
	v_min_f64 v[6:7], v[6:7], s[0:1]
	v_cvt_i32_f64_e32 v19, v[6:7]
	v_cvt_f64_i32_e32 v[6:7], v9
	v_sub_f32_e32 v2, v2, v37
	v_min_f64 v[6:7], v[6:7], s[0:1]
	v_fma_f32 v2, v2, v34, 0.5
	v_cvt_i32_f64_e32 v9, v[6:7]
	v_cvt_i32_f32_e32 v2, v2
	v_sub_f32_e32 v6, v10, v37
	v_fma_f32 v6, v6, v34, 0.5
	v_cvt_i32_f32_e32 v10, v6
	v_cvt_f64_i32_e32 v[6:7], v2
	v_min_f64 v[6:7], v[6:7], s[0:1]
	v_cvt_i32_f64_e32 v2, v[6:7]
	v_cvt_f64_i32_e32 v[6:7], v10
	v_min_f64 v[6:7], v[6:7], s[0:1]
	v_cvt_i32_f64_e32 v6, v[6:7]
	v_lshlrev_b16_e32 v6, 4, v6
	v_or_b32_e32 v6, v6, v2
	v_sub_f32_e32 v2, v3, v37
	v_fma_f32 v2, v2, v34, 0.5
	v_cvt_i32_f32_e32 v2, v2
	v_sub_f32_e32 v3, v11, v37
	v_fma_f32 v3, v3, v34, 0.5
	v_cvt_i32_f32_e32 v7, v3
	v_cvt_f64_i32_e32 v[2:3], v2
	v_min_f64 v[2:3], v[2:3], s[0:1]
	v_cvt_i32_f64_e32 v10, v[2:3]
	v_cvt_f64_i32_e32 v[2:3], v7
	v_min_f64 v[2:3], v[2:3], s[0:1]
	v_cvt_i32_f64_e32 v7, v[2:3]
	v_sub_f32_e32 v2, v4, v37
	v_fma_f32 v2, v2, v34, 0.5
	v_cvt_i32_f32_e32 v2, v2
	v_sub_f32_e32 v3, v12, v37
	v_fma_f32 v3, v3, v34, 0.5
	v_cvt_i32_f32_e32 v4, v3
	v_cvt_f64_i32_e32 v[2:3], v2
	v_min_f64 v[2:3], v[2:3], s[0:1]
	v_cvt_i32_f64_e32 v11, v[2:3]
	v_cvt_f64_i32_e32 v[2:3], v4
	v_min_f64 v[2:3], v[2:3], s[0:1]
	v_cvt_i32_f64_e32 v2, v[2:3]
	v_lshlrev_b16_e32 v2, 4, v2
	v_or_b32_e32 v4, v2, v11
	v_sub_f32_e32 v2, v5, v37
	v_fma_f32 v2, v2, v34, 0.5
	v_cvt_i32_f32_e32 v2, v2
	v_sub_f32_e32 v3, v13, v37
	v_fma_f32 v3, v3, v34, 0.5
	v_cvt_i32_f32_e32 v5, v3
	v_cvt_f64_i32_e32 v[2:3], v2
	v_min_f64 v[2:3], v[2:3], s[0:1]
	v_cvt_i32_f64_e32 v11, v[2:3]
	v_cvt_f64_i32_e32 v[2:3], v5
	v_min_f64 v[2:3], v[2:3], s[0:1]
	v_cvt_i32_f64_e32 v2, v[2:3]
	v_lshlrev_b16_e32 v3, 8, v10
	v_lshlrev_b16_e32 v5, 12, v7
	v_or_b32_e32 v3, v5, v3
	v_lshlrev_b16_e32 v5, 8, v11
	v_lshlrev_b16_e32 v2, 12, v2
	s_movk_i32 s0, 0xff
	v_or_b32_e32 v2, v2, v5
	v_bitop3_b16 v2, v4, v2, s0 bitop3:0xec
	v_bitop3_b16 v3, v6, v3, s0 bitop3:0xec
	v_lshlrev_b32_e32 v2, 16, v2
	v_or_b32_sdwa v5, v3, v2 dst_sel:DWORD dst_unused:UNUSED_PAD src0_sel:WORD_0 src1_sel:DWORD
	v_lshlrev_b16_e32 v2, 8, v18
	v_lshlrev_b16_e32 v3, 12, v15
	v_or_b32_e32 v2, v3, v2
	v_lshlrev_b16_e32 v3, 8, v19
	v_lshlrev_b16_e32 v4, 12, v9
	v_or_b32_e32 v3, v4, v3
	v_bitop3_b16 v3, v8, v3, s0 bitop3:0xec
	v_bitop3_b16 v2, v14, v2, s0 bitop3:0xec
	v_lshlrev_b32_e32 v3, 16, v3
	v_or_b32_sdwa v4, v2, v3 dst_sel:DWORD dst_unused:UNUSED_PAD src0_sel:WORD_0 src1_sel:DWORD
	v_lshlrev_b16_e32 v2, 8, v32
	v_lshlrev_b16_e32 v3, 12, v27
	v_or_b32_e32 v2, v3, v2
	v_lshlrev_b16_e32 v3, 8, v28
	v_lshlrev_b16_e32 v6, 12, v17
	;; [unrolled: 10-line block ×3, first 2 shown]
	v_or_b32_e32 v6, v7, v6
	v_bitop3_b16 v6, v24, v6, s0 bitop3:0xec
	v_bitop3_b16 v2, v22, v2, s0 bitop3:0xec
	v_lshlrev_b32_e32 v6, 16, v6
	v_or_b32_sdwa v2, v2, v6 dst_sel:DWORD dst_unused:UNUSED_PAD src0_sel:WORD_0 src1_sel:DWORD
	global_store_dwordx4 v[0:1], v[2:5], off offset:4
.LBB13_2:
	s_endpgm
	.section	.rodata,"a",@progbits
	.p2align	6, 0x0
	.amdhsa_kernel _ZL16k_set_rows_quantIi10block_q4_1Li32ETnPFvPKfPT0_EXadL_ZL23quantize_f32_q4_1_blockS2_PS0_EEEvS2_PKT_S4_llllllllllllll15HIP_vector_typeIjLj3EESC_SC_SC_SC_
		.amdhsa_group_segment_fixed_size 0
		.amdhsa_private_segment_fixed_size 0
		.amdhsa_kernarg_size 456
		.amdhsa_user_sgpr_count 2
		.amdhsa_user_sgpr_dispatch_ptr 0
		.amdhsa_user_sgpr_queue_ptr 0
		.amdhsa_user_sgpr_kernarg_segment_ptr 1
		.amdhsa_user_sgpr_dispatch_id 0
		.amdhsa_user_sgpr_kernarg_preload_length 0
		.amdhsa_user_sgpr_kernarg_preload_offset 0
		.amdhsa_user_sgpr_private_segment_size 0
		.amdhsa_uses_dynamic_stack 0
		.amdhsa_enable_private_segment 0
		.amdhsa_system_sgpr_workgroup_id_x 1
		.amdhsa_system_sgpr_workgroup_id_y 0
		.amdhsa_system_sgpr_workgroup_id_z 0
		.amdhsa_system_sgpr_workgroup_info 0
		.amdhsa_system_vgpr_workitem_id 0
		.amdhsa_next_free_vgpr 43
		.amdhsa_next_free_sgpr 40
		.amdhsa_accum_offset 44
		.amdhsa_reserve_vcc 1
		.amdhsa_float_round_mode_32 0
		.amdhsa_float_round_mode_16_64 0
		.amdhsa_float_denorm_mode_32 3
		.amdhsa_float_denorm_mode_16_64 3
		.amdhsa_dx10_clamp 1
		.amdhsa_ieee_mode 1
		.amdhsa_fp16_overflow 0
		.amdhsa_tg_split 0
		.amdhsa_exception_fp_ieee_invalid_op 0
		.amdhsa_exception_fp_denorm_src 0
		.amdhsa_exception_fp_ieee_div_zero 0
		.amdhsa_exception_fp_ieee_overflow 0
		.amdhsa_exception_fp_ieee_underflow 0
		.amdhsa_exception_fp_ieee_inexact 0
		.amdhsa_exception_int_div_zero 0
	.end_amdhsa_kernel
	.section	.text._ZL16k_set_rows_quantIi10block_q4_1Li32ETnPFvPKfPT0_EXadL_ZL23quantize_f32_q4_1_blockS2_PS0_EEEvS2_PKT_S4_llllllllllllll15HIP_vector_typeIjLj3EESC_SC_SC_SC_,"axG",@progbits,_ZL16k_set_rows_quantIi10block_q4_1Li32ETnPFvPKfPT0_EXadL_ZL23quantize_f32_q4_1_blockS2_PS0_EEEvS2_PKT_S4_llllllllllllll15HIP_vector_typeIjLj3EESC_SC_SC_SC_,comdat
.Lfunc_end13:
	.size	_ZL16k_set_rows_quantIi10block_q4_1Li32ETnPFvPKfPT0_EXadL_ZL23quantize_f32_q4_1_blockS2_PS0_EEEvS2_PKT_S4_llllllllllllll15HIP_vector_typeIjLj3EESC_SC_SC_SC_, .Lfunc_end13-_ZL16k_set_rows_quantIi10block_q4_1Li32ETnPFvPKfPT0_EXadL_ZL23quantize_f32_q4_1_blockS2_PS0_EEEvS2_PKT_S4_llllllllllllll15HIP_vector_typeIjLj3EESC_SC_SC_SC_
                                        ; -- End function
	.set _ZL16k_set_rows_quantIi10block_q4_1Li32ETnPFvPKfPT0_EXadL_ZL23quantize_f32_q4_1_blockS2_PS0_EEEvS2_PKT_S4_llllllllllllll15HIP_vector_typeIjLj3EESC_SC_SC_SC_.num_vgpr, 43
	.set _ZL16k_set_rows_quantIi10block_q4_1Li32ETnPFvPKfPT0_EXadL_ZL23quantize_f32_q4_1_blockS2_PS0_EEEvS2_PKT_S4_llllllllllllll15HIP_vector_typeIjLj3EESC_SC_SC_SC_.num_agpr, 0
	.set _ZL16k_set_rows_quantIi10block_q4_1Li32ETnPFvPKfPT0_EXadL_ZL23quantize_f32_q4_1_blockS2_PS0_EEEvS2_PKT_S4_llllllllllllll15HIP_vector_typeIjLj3EESC_SC_SC_SC_.numbered_sgpr, 40
	.set _ZL16k_set_rows_quantIi10block_q4_1Li32ETnPFvPKfPT0_EXadL_ZL23quantize_f32_q4_1_blockS2_PS0_EEEvS2_PKT_S4_llllllllllllll15HIP_vector_typeIjLj3EESC_SC_SC_SC_.num_named_barrier, 0
	.set _ZL16k_set_rows_quantIi10block_q4_1Li32ETnPFvPKfPT0_EXadL_ZL23quantize_f32_q4_1_blockS2_PS0_EEEvS2_PKT_S4_llllllllllllll15HIP_vector_typeIjLj3EESC_SC_SC_SC_.private_seg_size, 0
	.set _ZL16k_set_rows_quantIi10block_q4_1Li32ETnPFvPKfPT0_EXadL_ZL23quantize_f32_q4_1_blockS2_PS0_EEEvS2_PKT_S4_llllllllllllll15HIP_vector_typeIjLj3EESC_SC_SC_SC_.uses_vcc, 1
	.set _ZL16k_set_rows_quantIi10block_q4_1Li32ETnPFvPKfPT0_EXadL_ZL23quantize_f32_q4_1_blockS2_PS0_EEEvS2_PKT_S4_llllllllllllll15HIP_vector_typeIjLj3EESC_SC_SC_SC_.uses_flat_scratch, 0
	.set _ZL16k_set_rows_quantIi10block_q4_1Li32ETnPFvPKfPT0_EXadL_ZL23quantize_f32_q4_1_blockS2_PS0_EEEvS2_PKT_S4_llllllllllllll15HIP_vector_typeIjLj3EESC_SC_SC_SC_.has_dyn_sized_stack, 0
	.set _ZL16k_set_rows_quantIi10block_q4_1Li32ETnPFvPKfPT0_EXadL_ZL23quantize_f32_q4_1_blockS2_PS0_EEEvS2_PKT_S4_llllllllllllll15HIP_vector_typeIjLj3EESC_SC_SC_SC_.has_recursion, 0
	.set _ZL16k_set_rows_quantIi10block_q4_1Li32ETnPFvPKfPT0_EXadL_ZL23quantize_f32_q4_1_blockS2_PS0_EEEvS2_PKT_S4_llllllllllllll15HIP_vector_typeIjLj3EESC_SC_SC_SC_.has_indirect_call, 0
	.section	.AMDGPU.csdata,"",@progbits
; Kernel info:
; codeLenInByte = 3076
; TotalNumSgprs: 46
; NumVgprs: 43
; NumAgprs: 0
; TotalNumVgprs: 43
; ScratchSize: 0
; MemoryBound: 0
; FloatMode: 240
; IeeeMode: 1
; LDSByteSize: 0 bytes/workgroup (compile time only)
; SGPRBlocks: 5
; VGPRBlocks: 5
; NumSGPRsForWavesPerEU: 46
; NumVGPRsForWavesPerEU: 43
; AccumOffset: 44
; Occupancy: 8
; WaveLimiterHint : 1
; COMPUTE_PGM_RSRC2:SCRATCH_EN: 0
; COMPUTE_PGM_RSRC2:USER_SGPR: 2
; COMPUTE_PGM_RSRC2:TRAP_HANDLER: 0
; COMPUTE_PGM_RSRC2:TGID_X_EN: 1
; COMPUTE_PGM_RSRC2:TGID_Y_EN: 0
; COMPUTE_PGM_RSRC2:TGID_Z_EN: 0
; COMPUTE_PGM_RSRC2:TIDIG_COMP_CNT: 0
; COMPUTE_PGM_RSRC3_GFX90A:ACCUM_OFFSET: 10
; COMPUTE_PGM_RSRC3_GFX90A:TG_SPLIT: 0
	.section	.text._ZL16k_set_rows_quantIi10block_q5_0Li32ETnPFvPKfPT0_EXadL_ZL23quantize_f32_q5_0_blockS2_PS0_EEEvS2_PKT_S4_llllllllllllll15HIP_vector_typeIjLj3EESC_SC_SC_SC_,"axG",@progbits,_ZL16k_set_rows_quantIi10block_q5_0Li32ETnPFvPKfPT0_EXadL_ZL23quantize_f32_q5_0_blockS2_PS0_EEEvS2_PKT_S4_llllllllllllll15HIP_vector_typeIjLj3EESC_SC_SC_SC_,comdat
	.globl	_ZL16k_set_rows_quantIi10block_q5_0Li32ETnPFvPKfPT0_EXadL_ZL23quantize_f32_q5_0_blockS2_PS0_EEEvS2_PKT_S4_llllllllllllll15HIP_vector_typeIjLj3EESC_SC_SC_SC_ ; -- Begin function _ZL16k_set_rows_quantIi10block_q5_0Li32ETnPFvPKfPT0_EXadL_ZL23quantize_f32_q5_0_blockS2_PS0_EEEvS2_PKT_S4_llllllllllllll15HIP_vector_typeIjLj3EESC_SC_SC_SC_
	.p2align	8
	.type	_ZL16k_set_rows_quantIi10block_q5_0Li32ETnPFvPKfPT0_EXadL_ZL23quantize_f32_q5_0_blockS2_PS0_EEEvS2_PKT_S4_llllllllllllll15HIP_vector_typeIjLj3EESC_SC_SC_SC_,@function
_ZL16k_set_rows_quantIi10block_q5_0Li32ETnPFvPKfPT0_EXadL_ZL23quantize_f32_q5_0_blockS2_PS0_EEEvS2_PKT_S4_llllllllllllll15HIP_vector_typeIjLj3EESC_SC_SC_SC_: ; @_ZL16k_set_rows_quantIi10block_q5_0Li32ETnPFvPKfPT0_EXadL_ZL23quantize_f32_q5_0_blockS2_PS0_EEEvS2_PKT_S4_llllllllllllll15HIP_vector_typeIjLj3EESC_SC_SC_SC_
; %bb.0:
	s_load_dword s3, s[0:1], 0xd4
	s_load_dwordx2 s[4:5], s[0:1], 0x18
	v_mov_b32_e32 v1, 0
	v_mov_b32_e32 v2, s2
	s_waitcnt lgkmcnt(0)
	s_and_b32 s3, s3, 0xffff
	v_mad_u64_u32 v[2:3], s[2:3], s3, v2, v[0:1]
	v_cmp_gt_i64_e32 vcc, s[4:5], v[2:3]
	s_and_saveexec_b64 s[2:3], vcc
	s_cbranch_execz .LBB14_4
; %bb.1:
	s_load_dwordx4 s[28:31], s[0:1], 0x0
	s_load_dwordx2 s[2:3], s[0:1], 0x10
	s_load_dwordx16 s[4:19], s[0:1], 0x40
	s_load_dwordx8 s[20:27], s[0:1], 0x88
	s_load_dword s33, s[0:1], 0xc0
	s_load_dwordx2 s[34:35], s[0:1], 0xb8
	s_load_dwordx4 s[36:39], s[0:1], 0xa8
	v_lshlrev_b32_e32 v8, 5, v2
	s_waitcnt lgkmcnt(0)
	v_mul_hi_u32 v0, s20, v8
	v_add_u32_e32 v0, v8, v0
	v_lshrrev_b32_e32 v9, s21, v0
	v_mul_hi_u32 v0, v9, s23
	v_add_u32_e32 v0, v9, v0
	v_lshrrev_b32_e32 v0, s24, v0
	v_mul_lo_u32 v2, v0, s25
	v_sub_u32_e32 v10, v9, v2
	v_mul_hi_u32 v2, v0, s26
	v_add_u32_e32 v2, v0, v2
	v_lshrrev_b32_e32 v38, s27, v2
	v_mul_lo_u32 v2, v38, s36
	v_sub_u32_e32 v40, v0, v2
	;; [unrolled: 5-line block ×3, first 2 shown]
	v_mul_hi_u32 v0, v40, s37
	v_add_u32_e32 v0, v40, v0
	v_lshrrev_b32_e32 v0, s38, v0
	v_mul_lo_u32 v0, v0, s39
	v_mad_u64_u32 v[2:3], s[20:21], s10, v10, 0
	v_sub_u32_e32 v6, v40, v0
	v_mov_b32_e32 v0, v3
	v_mad_u64_u32 v[4:5], s[10:11], s11, v10, v[0:1]
	v_mov_b32_e32 v3, v4
	v_mad_u64_u32 v[4:5], s[10:11], s12, v6, 0
	;; [unrolled: 2-line block ×3, first 2 shown]
	v_lshl_add_u64 v[2:3], v[2:3], 2, s[30:31]
	v_mov_b32_e32 v5, v6
	v_lshl_add_u64 v[2:3], v[4:5], 2, v[2:3]
	v_mad_u64_u32 v[4:5], s[10:11], s14, v11, 0
	v_mov_b32_e32 v0, v5
	v_mad_u64_u32 v[6:7], s[10:11], s15, v11, v[0:1]
	v_mov_b32_e32 v5, v6
	v_lshl_add_u64 v[2:3], v[4:5], 2, v[2:3]
	global_load_dword v36, v[2:3], off
	v_mad_u64_u32 v[2:3], s[10:11], s4, v10, 0
	v_mov_b32_e32 v4, v3
	v_mad_u64_u32 v[4:5], s[4:5], s5, v10, v[4:5]
	v_mov_b32_e32 v3, v4
	;; [unrolled: 2-line block ×4, first 2 shown]
	v_lshlrev_b64 v[10:11], 2, v[4:5]
	v_mad_u64_u32 v[4:5], s[4:5], s8, v38, 0
	v_mul_lo_u32 v0, v9, s22
	v_mov_b32_e32 v6, v5
	v_sub_u32_e32 v0, v8, v0
	v_lshlrev_b64 v[8:9], 2, v[2:3]
	v_mad_u64_u32 v[6:7], s[4:5], s9, v38, v[6:7]
	v_lshl_add_u64 v[2:3], s[28:29], 0, v[8:9]
	v_mov_b32_e32 v5, v6
	v_lshl_add_u64 v[2:3], v[2:3], 0, v[10:11]
	v_lshlrev_b64 v[12:13], 2, v[4:5]
	v_lshl_add_u64 v[2:3], v[2:3], 0, v[12:13]
	v_lshlrev_b64 v[14:15], 2, v[0:1]
	v_lshl_add_u64 v[6:7], v[2:3], 0, v[14:15]
	global_load_dwordx4 v[16:19], v[6:7], off
	global_load_dwordx4 v[20:23], v[6:7], off offset:16
	global_load_dwordx4 v[24:27], v[6:7], off offset:32
	;; [unrolled: 1-line block ×3, first 2 shown]
	s_load_dwordx2 s[4:5], s[0:1], 0x80
	global_load_dwordx4 v[28:31], v[6:7], off offset:80
	global_load_dwordx4 v[32:35], v[6:7], off offset:64
	v_mov_b32_e32 v37, v1
	s_mov_b32 s0, 0xba2e8ba3
	v_mov_b32_e32 v39, v1
	s_mov_b32 s8, 0x2e8ba2e8
	v_mov_b32_e32 v41, v1
	v_lshrrev_b32_e32 v0, 5, v0
	v_lshl_add_u64 v[10:11], v[12:13], 0, v[10:11]
	v_lshl_add_u64 v[8:9], v[10:11], 0, v[8:9]
	;; [unrolled: 1-line block ×4, first 2 shown]
	s_mov_b32 s1, 0
	v_lshl_add_u64 v[8:9], v[8:9], 0, 64
	v_mov_b32_e32 v11, 0
	v_mov_b32_e32 v10, 0
	s_waitcnt vmcnt(6)
	v_ashrrev_i32_e32 v44, 31, v36
	v_mul_lo_u32 v45, s17, v36
	v_mad_u64_u32 v[42:43], s[6:7], s16, v36, 0
	v_mul_lo_u32 v36, s16, v44
	v_add3_u32 v43, v43, v36, v45
	s_waitcnt lgkmcnt(0)
	v_mad_u64_u32 v[42:43], s[6:7], s4, v38, v[42:43]
	v_mov_b32_e32 v36, v43
	v_mad_u64_u32 v[44:45], s[4:5], s5, v38, v[36:37]
	v_mov_b32_e32 v43, v44
	;; [unrolled: 2-line block ×3, first 2 shown]
	v_mul_hi_u32 v36, v42, s0
	v_mad_u64_u32 v[44:45], s[4:5], s19, v40, v[38:39]
	v_mad_u64_u32 v[36:37], s[4:5], v44, s0, v[36:37]
	v_mov_b32_e32 v38, v37
	v_mov_b32_e32 v37, v1
	v_mad_u64_u32 v[36:37], s[4:5], v42, s8, v[36:37]
	v_mov_b32_e32 v40, v37
	v_lshl_add_u64 v[36:37], v[38:39], 0, v[40:41]
	v_mad_u64_u32 v[44:45], s[4:5], v44, s8, v[36:37]
	global_load_dwordx4 v[36:39], v[6:7], off offset:112
	global_load_dwordx4 v[40:43], v[6:7], off offset:96
	s_waitcnt vmcnt(7)
	v_cmp_lg_f32_e32 vcc, 0, v16
	v_alignbit_b32 v44, v45, v44, 2
	v_lshrrev_b32_e32 v45, 2, v45
	v_cndmask_b32_e32 v48, 0, v16, vcc
	v_cndmask_b32_e64 v16, 0, |v16|, vcc
	v_cmp_lt_f32_e64 vcc, v16, |v17|
	v_mad_u64_u32 v[46:47], s[4:5], v44, 22, s[2:3]
	s_nop 0
	v_cndmask_b32_e64 v16, v16, |v17|, vcc
	v_cndmask_b32_e32 v48, v48, v17, vcc
	v_cmp_lt_f32_e64 vcc, v16, |v18|
	v_mul_lo_u32 v45, v45, 22
	v_add_u32_e32 v47, v45, v47
	v_cndmask_b32_e64 v16, v16, |v18|, vcc
	v_cndmask_b32_e32 v17, v48, v18, vcc
	v_cmp_lt_f32_e64 vcc, v16, |v19|
	s_mov_b32 s0, 0xbd800000
	s_movk_i32 s6, 0xff
	v_cndmask_b32_e64 v16, v16, |v19|, vcc
	v_cndmask_b32_e32 v17, v17, v19, vcc
	s_waitcnt vmcnt(6)
	v_cmp_lt_f32_e64 vcc, v16, |v20|
	s_mov_b32 s7, 0xff000000
	s_nop 0
	v_cndmask_b32_e64 v16, v16, |v20|, vcc
	v_cndmask_b32_e32 v17, v17, v20, vcc
	v_cmp_lt_f32_e64 vcc, v16, |v21|
	s_nop 1
	v_cndmask_b32_e64 v16, v16, |v21|, vcc
	v_cndmask_b32_e32 v17, v17, v21, vcc
	v_cmp_lt_f32_e64 vcc, v16, |v22|
	;; [unrolled: 4-line block ×3, first 2 shown]
	s_nop 1
	v_cndmask_b32_e64 v16, v16, |v23|, vcc
	v_cndmask_b32_e32 v17, v17, v23, vcc
	s_waitcnt vmcnt(5)
	v_cmp_lt_f32_e64 vcc, v16, |v24|
	s_nop 1
	v_cndmask_b32_e64 v16, v16, |v24|, vcc
	v_cndmask_b32_e32 v17, v17, v24, vcc
	v_cmp_lt_f32_e64 vcc, v16, |v25|
	s_nop 1
	v_cndmask_b32_e64 v16, v16, |v25|, vcc
	v_cndmask_b32_e32 v17, v17, v25, vcc
	;; [unrolled: 4-line block ×4, first 2 shown]
	s_waitcnt vmcnt(4)
	v_cmp_lt_f32_e64 vcc, v16, |v2|
	s_nop 1
	v_cndmask_b32_e32 v17, v17, v2, vcc
	v_cndmask_b32_e64 v2, v16, |v2|, vcc
	v_cmp_lt_f32_e64 vcc, v2, |v3|
	s_nop 1
	v_cndmask_b32_e64 v2, v2, |v3|, vcc
	v_cndmask_b32_e32 v16, v17, v3, vcc
	v_cmp_lt_f32_e64 vcc, v2, |v4|
	s_nop 1
	v_cndmask_b32_e64 v2, v2, |v4|, vcc
	v_cndmask_b32_e32 v3, v16, v4, vcc
	;; [unrolled: 4-line block ×3, first 2 shown]
	s_waitcnt vmcnt(2)
	v_cmp_lt_f32_e64 vcc, v2, |v32|
	s_nop 1
	v_cndmask_b32_e64 v2, v2, |v32|, vcc
	v_cndmask_b32_e32 v3, v3, v32, vcc
	v_cmp_lt_f32_e64 vcc, v2, |v33|
	s_nop 1
	v_cndmask_b32_e64 v2, v2, |v33|, vcc
	v_cndmask_b32_e32 v3, v3, v33, vcc
	v_cmp_lt_f32_e64 vcc, v2, |v34|
	s_nop 1
	v_cndmask_b32_e64 v2, v2, |v34|, vcc
	v_cndmask_b32_e32 v3, v3, v34, vcc
	v_cmp_lt_f32_e64 vcc, v2, |v35|
	s_nop 1
	v_cndmask_b32_e64 v2, v2, |v35|, vcc
	v_cndmask_b32_e32 v3, v3, v35, vcc
	v_cmp_lt_f32_e64 vcc, v2, |v28|
	s_nop 1
	v_cndmask_b32_e64 v2, v2, |v28|, vcc
	v_cndmask_b32_e32 v3, v3, v28, vcc
	v_cmp_lt_f32_e64 vcc, v2, |v29|
	s_nop 1
	v_cndmask_b32_e64 v2, v2, |v29|, vcc
	v_cndmask_b32_e32 v3, v3, v29, vcc
	v_cmp_lt_f32_e64 vcc, v2, |v30|
	s_nop 1
	v_cndmask_b32_e64 v2, v2, |v30|, vcc
	v_cndmask_b32_e32 v3, v3, v30, vcc
	v_cmp_lt_f32_e64 vcc, v2, |v31|
	s_nop 1
	v_cndmask_b32_e64 v2, v2, |v31|, vcc
	v_cndmask_b32_e32 v3, v3, v31, vcc
	s_waitcnt vmcnt(0)
	v_cmp_lt_f32_e64 vcc, v2, |v40|
	s_nop 1
	v_cndmask_b32_e64 v2, v2, |v40|, vcc
	v_cndmask_b32_e32 v3, v3, v40, vcc
	v_cmp_lt_f32_e64 vcc, v2, |v41|
	s_nop 1
	v_cndmask_b32_e64 v2, v2, |v41|, vcc
	v_cndmask_b32_e32 v3, v3, v41, vcc
	;; [unrolled: 4-line block ×7, first 2 shown]
	v_cmp_lt_f32_e64 vcc, v2, |v39|
	s_nop 1
	v_cndmask_b32_e32 v4, v3, v39, vcc
	v_mul_f32_e32 v5, 0xbd800000, v4
	v_div_scale_f32 v16, s[4:5], v5, v5, 1.0
	v_rcp_f32_e32 v17, v16
	v_mad_u64_u32 v[2:3], s[4:5], v0, 22, v[46:47]
	v_mul_lo_u32 v0, v0, 22
	v_fma_f32 v18, -v16, v17, 1.0
	v_fmac_f32_e32 v17, v18, v17
	v_div_scale_f32 v18, vcc, 1.0, v5, 1.0
	v_mul_f32_e32 v19, v18, v17
	v_fma_f32 v20, -v16, v19, v18
	v_fmac_f32_e32 v19, v20, v17
	v_fma_f32 v16, -v16, v19, v18
	v_div_fmas_f32 v16, v16, v17, v19
	v_fma_mixlo_f16 v4, v4, s0, 0
	v_div_fixup_f32 v16, v16, v5, 1.0
	v_cmp_neq_f32_e32 vcc, 0, v5
	global_store_short v[2:3], v4, off
	v_mad_u64_u32 v[4:5], s[4:5], v44, 22, v[0:1]
	v_add_u32_e32 v5, v45, v5
                                        ; implicit-def: $vgpr0
	s_mov_b32 s4, 0
	v_cndmask_b32_e32 v16, 0, v16, vcc
	v_lshl_add_u64 v[4:5], s[2:3], 0, v[4:5]
	s_mov_b64 s[2:3], 0
	s_mov_b32 s5, 0x403f0000
	v_mov_b32_e32 v0, 15
.LBB14_2:                               ; =>This Inner Loop Header: Depth=1
	global_load_dwordx2 v[12:13], v[8:9], off offset:-64
	global_load_dword v17, v[8:9], off
	s_or_b32 s0, s2, 17
	v_lshl_add_u64 v[14:15], s[0:1], 2, v[6:7]
	global_load_dword v18, v[14:15], off
	v_and_b32_e32 v11, 0xff0000, v11
	v_and_b32_e32 v1, 0xffff, v1
	v_or3_b32 v1, v11, v10, v1
	s_add_i32 s8, s2, 16
	s_add_i32 s9, s2, 1
	v_lshl_add_u64 v[14:15], v[4:5], 0, s[2:3]
	v_lshl_add_u64 v[8:9], v[8:9], 0, 8
	s_waitcnt vmcnt(2)
	v_fmaak_f32 v10, v16, v12, 0x41840000
	s_waitcnt vmcnt(1)
	v_fmaak_f32 v11, v16, v17, 0x41840000
	v_fmaak_f32 v12, v16, v13, 0x41840000
	v_cvt_i32_f32_e32 v10, v10
	v_cvt_i32_f32_e32 v13, v11
	;; [unrolled: 1-line block ×3, first 2 shown]
	s_waitcnt vmcnt(0)
	v_fmaak_f32 v11, v16, v18, 0x41840000
	v_cvt_i32_f32_e32 v20, v11
	v_cvt_f64_i32_e32 v[10:11], v10
	v_cvt_f64_i32_e32 v[12:13], v13
	;; [unrolled: 1-line block ×3, first 2 shown]
	v_min_f64 v[10:11], v[10:11], s[4:5]
	v_min_f64 v[12:13], v[12:13], s[4:5]
	;; [unrolled: 1-line block ×3, first 2 shown]
	v_cvt_i32_f64_e32 v17, v[10:11]
	v_cvt_i32_f64_e32 v12, v[12:13]
	v_cvt_f64_i32_e32 v[10:11], v20
	v_cvt_i32_f64_e32 v13, v[18:19]
	v_lshlrev_b16_e32 v18, 4, v12
	v_lshrrev_b16_e32 v19, 4, v17
	v_lshrrev_b16_e32 v12, 4, v12
	v_min_f64 v[10:11], v[10:11], s[4:5]
	v_and_b32_sdwa v20, v13, v0 dst_sel:BYTE_1 dst_unused:UNUSED_PAD src0_sel:DWORD src1_sel:DWORD
	v_lshrrev_b16_e32 v13, 4, v13
	v_bitop3_b16 v17, v18, v17, 15 bitop3:0xf8
	v_and_b32_e32 v18, 1, v19
	v_and_b32_e32 v12, 1, v12
	v_cvt_i32_f64_e32 v10, v[10:11]
	v_and_b32_e32 v11, 1, v13
	v_lshlrev_b32_sdwa v13, s2, v18 dst_sel:DWORD dst_unused:UNUSED_PAD src0_sel:DWORD src1_sel:WORD_0
	v_lshlrev_b32_sdwa v12, s8, v12 dst_sel:DWORD dst_unused:UNUSED_PAD src0_sel:DWORD src1_sel:WORD_0
	v_lshlrev_b16_e32 v18, 12, v10
	v_lshrrev_b16_e32 v10, 4, v10
	v_and_b32_e32 v11, 0xffff, v11
	s_add_u32 s2, s2, 2
	v_or3_b32 v1, v13, v1, v12
	v_and_b32_e32 v10, 1, v10
	v_or_b32_e32 v18, v18, v20
	s_addc_u32 s3, s3, 0
	v_lshl_or_b32 v1, v11, s9, v1
	v_lshlrev_b32_sdwa v10, s0, v10 dst_sel:DWORD dst_unused:UNUSED_PAD src0_sel:DWORD src1_sel:WORD_0
	v_bitop3_b16 v12, v17, v18, s6 bitop3:0xec
	s_cmp_lg_u32 s2, 16
	v_or_b32_e32 v11, v1, v10
	v_bitop3_b32 v10, v1, s7, v10 bitop3:0xc8
	global_store_short v[14:15], v12, off offset:6
	s_cbranch_scc1 .LBB14_2
; %bb.3:
	s_mov_b32 s0, 0xffff
	v_bfi_b32 v0, s0, v1, v11
	global_store_dword v[2:3], v0, off offset:2
.LBB14_4:
	s_endpgm
	.section	.rodata,"a",@progbits
	.p2align	6, 0x0
	.amdhsa_kernel _ZL16k_set_rows_quantIi10block_q5_0Li32ETnPFvPKfPT0_EXadL_ZL23quantize_f32_q5_0_blockS2_PS0_EEEvS2_PKT_S4_llllllllllllll15HIP_vector_typeIjLj3EESC_SC_SC_SC_
		.amdhsa_group_segment_fixed_size 0
		.amdhsa_private_segment_fixed_size 0
		.amdhsa_kernarg_size 456
		.amdhsa_user_sgpr_count 2
		.amdhsa_user_sgpr_dispatch_ptr 0
		.amdhsa_user_sgpr_queue_ptr 0
		.amdhsa_user_sgpr_kernarg_segment_ptr 1
		.amdhsa_user_sgpr_dispatch_id 0
		.amdhsa_user_sgpr_kernarg_preload_length 0
		.amdhsa_user_sgpr_kernarg_preload_offset 0
		.amdhsa_user_sgpr_private_segment_size 0
		.amdhsa_uses_dynamic_stack 0
		.amdhsa_enable_private_segment 0
		.amdhsa_system_sgpr_workgroup_id_x 1
		.amdhsa_system_sgpr_workgroup_id_y 0
		.amdhsa_system_sgpr_workgroup_id_z 0
		.amdhsa_system_sgpr_workgroup_info 0
		.amdhsa_system_vgpr_workitem_id 0
		.amdhsa_next_free_vgpr 49
		.amdhsa_next_free_sgpr 40
		.amdhsa_accum_offset 52
		.amdhsa_reserve_vcc 1
		.amdhsa_float_round_mode_32 0
		.amdhsa_float_round_mode_16_64 0
		.amdhsa_float_denorm_mode_32 3
		.amdhsa_float_denorm_mode_16_64 3
		.amdhsa_dx10_clamp 1
		.amdhsa_ieee_mode 1
		.amdhsa_fp16_overflow 0
		.amdhsa_tg_split 0
		.amdhsa_exception_fp_ieee_invalid_op 0
		.amdhsa_exception_fp_denorm_src 0
		.amdhsa_exception_fp_ieee_div_zero 0
		.amdhsa_exception_fp_ieee_overflow 0
		.amdhsa_exception_fp_ieee_underflow 0
		.amdhsa_exception_fp_ieee_inexact 0
		.amdhsa_exception_int_div_zero 0
	.end_amdhsa_kernel
	.section	.text._ZL16k_set_rows_quantIi10block_q5_0Li32ETnPFvPKfPT0_EXadL_ZL23quantize_f32_q5_0_blockS2_PS0_EEEvS2_PKT_S4_llllllllllllll15HIP_vector_typeIjLj3EESC_SC_SC_SC_,"axG",@progbits,_ZL16k_set_rows_quantIi10block_q5_0Li32ETnPFvPKfPT0_EXadL_ZL23quantize_f32_q5_0_blockS2_PS0_EEEvS2_PKT_S4_llllllllllllll15HIP_vector_typeIjLj3EESC_SC_SC_SC_,comdat
.Lfunc_end14:
	.size	_ZL16k_set_rows_quantIi10block_q5_0Li32ETnPFvPKfPT0_EXadL_ZL23quantize_f32_q5_0_blockS2_PS0_EEEvS2_PKT_S4_llllllllllllll15HIP_vector_typeIjLj3EESC_SC_SC_SC_, .Lfunc_end14-_ZL16k_set_rows_quantIi10block_q5_0Li32ETnPFvPKfPT0_EXadL_ZL23quantize_f32_q5_0_blockS2_PS0_EEEvS2_PKT_S4_llllllllllllll15HIP_vector_typeIjLj3EESC_SC_SC_SC_
                                        ; -- End function
	.set _ZL16k_set_rows_quantIi10block_q5_0Li32ETnPFvPKfPT0_EXadL_ZL23quantize_f32_q5_0_blockS2_PS0_EEEvS2_PKT_S4_llllllllllllll15HIP_vector_typeIjLj3EESC_SC_SC_SC_.num_vgpr, 49
	.set _ZL16k_set_rows_quantIi10block_q5_0Li32ETnPFvPKfPT0_EXadL_ZL23quantize_f32_q5_0_blockS2_PS0_EEEvS2_PKT_S4_llllllllllllll15HIP_vector_typeIjLj3EESC_SC_SC_SC_.num_agpr, 0
	.set _ZL16k_set_rows_quantIi10block_q5_0Li32ETnPFvPKfPT0_EXadL_ZL23quantize_f32_q5_0_blockS2_PS0_EEEvS2_PKT_S4_llllllllllllll15HIP_vector_typeIjLj3EESC_SC_SC_SC_.numbered_sgpr, 40
	.set _ZL16k_set_rows_quantIi10block_q5_0Li32ETnPFvPKfPT0_EXadL_ZL23quantize_f32_q5_0_blockS2_PS0_EEEvS2_PKT_S4_llllllllllllll15HIP_vector_typeIjLj3EESC_SC_SC_SC_.num_named_barrier, 0
	.set _ZL16k_set_rows_quantIi10block_q5_0Li32ETnPFvPKfPT0_EXadL_ZL23quantize_f32_q5_0_blockS2_PS0_EEEvS2_PKT_S4_llllllllllllll15HIP_vector_typeIjLj3EESC_SC_SC_SC_.private_seg_size, 0
	.set _ZL16k_set_rows_quantIi10block_q5_0Li32ETnPFvPKfPT0_EXadL_ZL23quantize_f32_q5_0_blockS2_PS0_EEEvS2_PKT_S4_llllllllllllll15HIP_vector_typeIjLj3EESC_SC_SC_SC_.uses_vcc, 1
	.set _ZL16k_set_rows_quantIi10block_q5_0Li32ETnPFvPKfPT0_EXadL_ZL23quantize_f32_q5_0_blockS2_PS0_EEEvS2_PKT_S4_llllllllllllll15HIP_vector_typeIjLj3EESC_SC_SC_SC_.uses_flat_scratch, 0
	.set _ZL16k_set_rows_quantIi10block_q5_0Li32ETnPFvPKfPT0_EXadL_ZL23quantize_f32_q5_0_blockS2_PS0_EEEvS2_PKT_S4_llllllllllllll15HIP_vector_typeIjLj3EESC_SC_SC_SC_.has_dyn_sized_stack, 0
	.set _ZL16k_set_rows_quantIi10block_q5_0Li32ETnPFvPKfPT0_EXadL_ZL23quantize_f32_q5_0_blockS2_PS0_EEEvS2_PKT_S4_llllllllllllll15HIP_vector_typeIjLj3EESC_SC_SC_SC_.has_recursion, 0
	.set _ZL16k_set_rows_quantIi10block_q5_0Li32ETnPFvPKfPT0_EXadL_ZL23quantize_f32_q5_0_blockS2_PS0_EEEvS2_PKT_S4_llllllllllllll15HIP_vector_typeIjLj3EESC_SC_SC_SC_.has_indirect_call, 0
	.section	.AMDGPU.csdata,"",@progbits
; Kernel info:
; codeLenInByte = 2164
; TotalNumSgprs: 46
; NumVgprs: 49
; NumAgprs: 0
; TotalNumVgprs: 49
; ScratchSize: 0
; MemoryBound: 0
; FloatMode: 240
; IeeeMode: 1
; LDSByteSize: 0 bytes/workgroup (compile time only)
; SGPRBlocks: 5
; VGPRBlocks: 6
; NumSGPRsForWavesPerEU: 46
; NumVGPRsForWavesPerEU: 49
; AccumOffset: 52
; Occupancy: 8
; WaveLimiterHint : 1
; COMPUTE_PGM_RSRC2:SCRATCH_EN: 0
; COMPUTE_PGM_RSRC2:USER_SGPR: 2
; COMPUTE_PGM_RSRC2:TRAP_HANDLER: 0
; COMPUTE_PGM_RSRC2:TGID_X_EN: 1
; COMPUTE_PGM_RSRC2:TGID_Y_EN: 0
; COMPUTE_PGM_RSRC2:TGID_Z_EN: 0
; COMPUTE_PGM_RSRC2:TIDIG_COMP_CNT: 0
; COMPUTE_PGM_RSRC3_GFX90A:ACCUM_OFFSET: 12
; COMPUTE_PGM_RSRC3_GFX90A:TG_SPLIT: 0
	.section	.text._ZL16k_set_rows_quantIi10block_q5_1Li32ETnPFvPKfPT0_EXadL_ZL23quantize_f32_q5_1_blockS2_PS0_EEEvS2_PKT_S4_llllllllllllll15HIP_vector_typeIjLj3EESC_SC_SC_SC_,"axG",@progbits,_ZL16k_set_rows_quantIi10block_q5_1Li32ETnPFvPKfPT0_EXadL_ZL23quantize_f32_q5_1_blockS2_PS0_EEEvS2_PKT_S4_llllllllllllll15HIP_vector_typeIjLj3EESC_SC_SC_SC_,comdat
	.globl	_ZL16k_set_rows_quantIi10block_q5_1Li32ETnPFvPKfPT0_EXadL_ZL23quantize_f32_q5_1_blockS2_PS0_EEEvS2_PKT_S4_llllllllllllll15HIP_vector_typeIjLj3EESC_SC_SC_SC_ ; -- Begin function _ZL16k_set_rows_quantIi10block_q5_1Li32ETnPFvPKfPT0_EXadL_ZL23quantize_f32_q5_1_blockS2_PS0_EEEvS2_PKT_S4_llllllllllllll15HIP_vector_typeIjLj3EESC_SC_SC_SC_
	.p2align	8
	.type	_ZL16k_set_rows_quantIi10block_q5_1Li32ETnPFvPKfPT0_EXadL_ZL23quantize_f32_q5_1_blockS2_PS0_EEEvS2_PKT_S4_llllllllllllll15HIP_vector_typeIjLj3EESC_SC_SC_SC_,@function
_ZL16k_set_rows_quantIi10block_q5_1Li32ETnPFvPKfPT0_EXadL_ZL23quantize_f32_q5_1_blockS2_PS0_EEEvS2_PKT_S4_llllllllllllll15HIP_vector_typeIjLj3EESC_SC_SC_SC_: ; @_ZL16k_set_rows_quantIi10block_q5_1Li32ETnPFvPKfPT0_EXadL_ZL23quantize_f32_q5_1_blockS2_PS0_EEEvS2_PKT_S4_llllllllllllll15HIP_vector_typeIjLj3EESC_SC_SC_SC_
; %bb.0:
	s_load_dword s3, s[0:1], 0xd4
	s_load_dwordx2 s[4:5], s[0:1], 0x18
	v_mov_b32_e32 v1, 0
	v_mov_b32_e32 v2, s2
	s_waitcnt lgkmcnt(0)
	s_and_b32 s3, s3, 0xffff
	v_mad_u64_u32 v[2:3], s[2:3], s3, v2, v[0:1]
	v_cmp_gt_i64_e32 vcc, s[4:5], v[2:3]
	s_and_saveexec_b64 s[2:3], vcc
	s_cbranch_execz .LBB15_4
; %bb.1:
	s_load_dwordx4 s[28:31], s[0:1], 0x0
	s_load_dwordx2 s[2:3], s[0:1], 0x10
	s_load_dwordx16 s[4:19], s[0:1], 0x40
	s_load_dwordx8 s[20:27], s[0:1], 0x88
	s_load_dword s33, s[0:1], 0xc0
	s_load_dwordx2 s[34:35], s[0:1], 0xb8
	s_load_dwordx4 s[36:39], s[0:1], 0xa8
	v_lshlrev_b32_e32 v8, 5, v2
	s_waitcnt lgkmcnt(0)
	v_mul_hi_u32 v0, s20, v8
	v_add_u32_e32 v0, v8, v0
	v_lshrrev_b32_e32 v9, s21, v0
	v_mul_hi_u32 v0, v9, s23
	v_add_u32_e32 v0, v9, v0
	v_lshrrev_b32_e32 v0, s24, v0
	v_mul_lo_u32 v2, v0, s25
	v_sub_u32_e32 v10, v9, v2
	v_mul_hi_u32 v2, v0, s26
	v_add_u32_e32 v2, v0, v2
	v_lshrrev_b32_e32 v38, s27, v2
	v_mul_lo_u32 v2, v38, s36
	v_sub_u32_e32 v40, v0, v2
	;; [unrolled: 5-line block ×3, first 2 shown]
	v_mul_hi_u32 v0, v40, s37
	v_add_u32_e32 v0, v40, v0
	v_lshrrev_b32_e32 v0, s38, v0
	v_mul_lo_u32 v0, v0, s39
	v_mad_u64_u32 v[2:3], s[20:21], s10, v10, 0
	v_sub_u32_e32 v6, v40, v0
	v_mov_b32_e32 v0, v3
	v_mad_u64_u32 v[4:5], s[10:11], s11, v10, v[0:1]
	v_mov_b32_e32 v3, v4
	v_mad_u64_u32 v[4:5], s[10:11], s12, v6, 0
	;; [unrolled: 2-line block ×3, first 2 shown]
	v_lshl_add_u64 v[2:3], v[2:3], 2, s[30:31]
	v_mov_b32_e32 v5, v6
	v_lshl_add_u64 v[2:3], v[4:5], 2, v[2:3]
	v_mad_u64_u32 v[4:5], s[10:11], s14, v11, 0
	v_mov_b32_e32 v0, v5
	v_mad_u64_u32 v[6:7], s[10:11], s15, v11, v[0:1]
	v_mov_b32_e32 v5, v6
	v_lshl_add_u64 v[2:3], v[4:5], 2, v[2:3]
	global_load_dword v24, v[2:3], off
	v_mad_u64_u32 v[2:3], s[10:11], s4, v10, 0
	v_mov_b32_e32 v4, v3
	v_mad_u64_u32 v[4:5], s[4:5], s5, v10, v[4:5]
	v_mov_b32_e32 v3, v4
	;; [unrolled: 2-line block ×4, first 2 shown]
	v_lshlrev_b64 v[18:19], 2, v[4:5]
	v_mad_u64_u32 v[4:5], s[4:5], s8, v38, 0
	v_mov_b32_e32 v6, v5
	v_lshlrev_b64 v[16:17], 2, v[2:3]
	v_mad_u64_u32 v[6:7], s[4:5], s9, v38, v[6:7]
	v_mul_lo_u32 v0, v9, s22
	v_lshl_add_u64 v[2:3], s[28:29], 0, v[16:17]
	v_mov_b32_e32 v5, v6
	v_sub_u32_e32 v0, v8, v0
	v_lshl_add_u64 v[2:3], v[2:3], 0, v[18:19]
	v_lshlrev_b64 v[20:21], 2, v[4:5]
	v_lshl_add_u64 v[2:3], v[2:3], 0, v[20:21]
	v_lshlrev_b64 v[22:23], 2, v[0:1]
	v_lshl_add_u64 v[14:15], v[2:3], 0, v[22:23]
	global_load_dwordx4 v[10:13], v[14:15], off
	global_load_dwordx4 v[26:29], v[14:15], off offset:16
	global_load_dwordx4 v[6:9], v[14:15], off offset:32
	;; [unrolled: 1-line block ×3, first 2 shown]
	s_load_dwordx2 s[4:5], s[0:1], 0x80
	v_mov_b32_e32 v25, v1
	global_load_dwordx4 v[30:33], v[14:15], off offset:80
	global_load_dwordx4 v[34:37], v[14:15], off offset:64
	s_mov_b32 s0, 0xaaaaaaab
	v_mov_b32_e32 v39, v1
	s_mov_b32 s8, 0xaaaaaaaa
	v_mov_b32_e32 v41, v1
	v_lshrrev_b32_e32 v0, 5, v0
	s_mov_b32 s1, 0
	s_waitcnt vmcnt(6)
	v_ashrrev_i32_e32 v44, 31, v24
	v_mul_lo_u32 v45, s17, v24
	v_mad_u64_u32 v[42:43], s[6:7], s16, v24, 0
	v_mul_lo_u32 v24, s16, v44
	v_add3_u32 v43, v43, v24, v45
	s_waitcnt lgkmcnt(0)
	v_mad_u64_u32 v[42:43], s[6:7], s4, v38, v[42:43]
	v_mov_b32_e32 v24, v43
	v_mad_u64_u32 v[44:45], s[4:5], s5, v38, v[24:25]
	v_mov_b32_e32 v43, v44
	;; [unrolled: 2-line block ×3, first 2 shown]
	v_mul_hi_u32 v24, v42, s0
	v_mad_u64_u32 v[44:45], s[4:5], s19, v40, v[38:39]
	v_mad_u64_u32 v[24:25], s[4:5], v44, s0, v[24:25]
	v_mov_b32_e32 v38, v25
	v_mov_b32_e32 v25, v1
	v_mad_u64_u32 v[24:25], s[4:5], v42, s8, v[24:25]
	v_mov_b32_e32 v40, v25
	v_lshl_add_u64 v[24:25], v[38:39], 0, v[40:41]
	v_mad_u64_u32 v[38:39], s[4:5], v44, s8, v[24:25]
	s_waitcnt vmcnt(5)
	v_cmp_gt_f32_e32 vcc, v11, v10
	v_alignbit_b32 v42, v39, v38, 4
	v_lshrrev_b32_e32 v43, 4, v39
	v_cndmask_b32_e32 v38, v10, v11, vcc
	v_cmp_gt_f32_e32 vcc, v10, v11
	s_mov_b32 s0, 0x41f80000
	v_mad_u64_u32 v[24:25], s[4:5], v42, 24, s[2:3]
	v_cndmask_b32_e32 v10, v10, v11, vcc
	v_cmp_gt_f32_e32 vcc, v12, v38
	s_nop 1
	v_cndmask_b32_e32 v11, v38, v12, vcc
	v_cmp_gt_f32_e32 vcc, v10, v12
	s_nop 1
	;; [unrolled: 3-line block ×4, first 2 shown]
	v_cndmask_b32_e32 v45, v10, v13, vcc
	global_load_dwordx4 v[10:13], v[14:15], off offset:112
	global_load_dwordx4 v[38:41], v[14:15], off offset:96
	s_waitcnt vmcnt(6)
	v_cmp_gt_f32_e32 vcc, v26, v44
	s_nop 1
	v_cndmask_b32_e32 v44, v44, v26, vcc
	v_cmp_gt_f32_e32 vcc, v45, v26
	s_nop 1
	v_cndmask_b32_e32 v26, v45, v26, vcc
	;; [unrolled: 3-line block ×8, first 2 shown]
	s_waitcnt vmcnt(5)
	v_cmp_gt_f32_e32 vcc, v6, v27
	s_nop 1
	v_cndmask_b32_e32 v27, v27, v6, vcc
	v_cmp_gt_f32_e32 vcc, v26, v6
	s_nop 1
	v_cndmask_b32_e32 v6, v26, v6, vcc
	;; [unrolled: 3-line block ×3, first 2 shown]
	v_cmp_lt_f32_e32 vcc, v7, v6
	s_nop 1
	v_cndmask_b32_e32 v6, v6, v7, vcc
	v_cmp_gt_f32_e32 vcc, v8, v26
	s_nop 1
	v_cndmask_b32_e32 v7, v26, v8, vcc
	v_cmp_gt_f32_e32 vcc, v6, v8
	;; [unrolled: 3-line block ×4, first 2 shown]
	s_nop 1
	v_cndmask_b32_e32 v6, v6, v9, vcc
	s_waitcnt vmcnt(4)
	v_cmp_gt_f32_e32 vcc, v2, v7
	s_nop 1
	v_cndmask_b32_e32 v7, v7, v2, vcc
	v_cmp_gt_f32_e32 vcc, v6, v2
	s_nop 1
	v_cndmask_b32_e32 v2, v6, v2, vcc
	;; [unrolled: 3-line block ×5, first 2 shown]
	v_cmp_gt_f32_e32 vcc, v2, v4
	v_mul_lo_u32 v6, v43, 24
	v_add_u32_e32 v25, v6, v25
	v_cndmask_b32_e32 v2, v2, v4, vcc
	v_cmp_gt_f32_e32 vcc, v5, v3
	s_nop 1
	v_cndmask_b32_e32 v3, v3, v5, vcc
	v_cmp_gt_f32_e32 vcc, v2, v5
	s_nop 1
	v_cndmask_b32_e32 v2, v2, v5, vcc
	s_waitcnt vmcnt(2)
	v_cmp_gt_f32_e32 vcc, v34, v3
	s_nop 1
	v_cndmask_b32_e32 v3, v3, v34, vcc
	v_cmp_gt_f32_e32 vcc, v2, v34
	s_nop 1
	v_cndmask_b32_e32 v2, v2, v34, vcc
	;; [unrolled: 3-line block ×8, first 2 shown]
	v_cmp_lt_f32_e32 vcc, v30, v2
	s_nop 1
	v_cndmask_b32_e32 v2, v2, v30, vcc
	v_cmp_gt_f32_e32 vcc, v30, v3
	s_nop 1
	v_cndmask_b32_e32 v3, v3, v30, vcc
	v_cmp_gt_f32_e32 vcc, v2, v31
	;; [unrolled: 3-line block ×7, first 2 shown]
	s_nop 1
	v_cndmask_b32_e32 v3, v3, v33, vcc
	s_waitcnt vmcnt(0)
	v_cmp_gt_f32_e32 vcc, v2, v38
	s_nop 1
	v_cndmask_b32_e32 v2, v2, v38, vcc
	v_cmp_gt_f32_e32 vcc, v38, v3
	s_nop 1
	v_cndmask_b32_e32 v3, v3, v38, vcc
	;; [unrolled: 3-line block ×16, first 2 shown]
	v_sub_f32_e32 v2, v2, v8
	v_div_scale_f32 v3, s[4:5], s0, s0, v2
	v_rcp_f32_e32 v4, v3
	s_nop 0
	v_fma_f32 v5, -v3, v4, 1.0
	v_fmac_f32_e32 v4, v5, v4
	v_div_scale_f32 v5, vcc, v2, s0, v2
	v_mul_f32_e32 v7, v5, v4
	v_fma_f32 v9, -v3, v7, v5
	v_fmac_f32_e32 v7, v9, v4
	v_fma_f32 v3, -v3, v7, v5
	v_div_fmas_f32 v3, v3, v4, v7
	v_div_fixup_f32 v4, v3, s0, v2
	v_div_scale_f32 v5, s[4:5], v4, v4, 1.0
	v_rcp_f32_e32 v7, v5
	v_mad_u64_u32 v[2:3], s[4:5], v0, 24, v[24:25]
	v_mul_lo_u32 v0, v0, 24
	v_fma_f32 v9, -v5, v7, 1.0
	v_fmac_f32_e32 v7, v9, v7
	v_div_scale_f32 v9, vcc, 1.0, v4, 1.0
	v_mul_f32_e32 v10, v9, v7
	v_fma_f32 v11, -v5, v10, v9
	v_fmac_f32_e32 v10, v11, v7
	v_fma_f32 v5, -v5, v10, v9
	v_div_fmas_f32 v5, v5, v7, v10
	v_div_fixup_f32 v5, v5, v4, 1.0
	v_cmp_neq_f32_e32 vcc, 0, v4
	v_cvt_pk_f16_f32 v4, v4, v8
	global_store_dword v[2:3], v4, off
	v_cndmask_b32_e32 v9, 0, v5, vcc
	v_mad_u64_u32 v[4:5], s[4:5], v42, 24, v[0:1]
	v_add_u32_e32 v5, v6, v5
	v_lshl_add_u64 v[6:7], v[20:21], 0, v[18:19]
	v_lshl_add_u64 v[6:7], v[6:7], 0, v[16:17]
	;; [unrolled: 1-line block ×6, first 2 shown]
	s_mov_b64 s[2:3], 0
	s_movk_i32 s4, 0xff
	s_mov_b32 s5, 0xff000000
	v_mov_b32_e32 v0, 15
	v_mov_b32_e32 v11, 0
	;; [unrolled: 1-line block ×3, first 2 shown]
.LBB15_2:                               ; =>This Inner Loop Header: Depth=1
	s_or_b32 s0, s2, 17
	v_lshl_add_u64 v[12:13], s[0:1], 2, v[14:15]
	global_load_dword v12, v[12:13], off
	v_and_b32_e32 v11, 0xff0000, v11
	v_and_b32_e32 v1, 0xffff, v1
	v_or3_b32 v1, v11, v10, v1
	s_add_i32 s6, s2, 16
	s_add_i32 s7, s2, 1
	;; [unrolled: 1-line block ×4, first 2 shown]
	s_waitcnt vmcnt(0)
	v_sub_f32_e32 v12, v12, v8
	v_fma_f32 v12, v9, v12, 0.5
	v_cvt_i32_f32_e32 v20, v12
	v_lshrrev_b16_e32 v12, 4, v20
	v_and_b32_e32 v12, 1, v12
	v_lshlrev_b32_sdwa v21, s0, v12 dst_sel:DWORD dst_unused:UNUSED_PAD src0_sel:DWORD src1_sel:WORD_0
	s_or_b32 s0, s2, 18
	v_lshl_add_u64 v[12:13], s[0:1], 2, v[14:15]
	global_load_dword v22, v[12:13], off
	global_load_dwordx4 v[16:19], v[6:7], off offset:-64
	global_load_dword v23, v[6:7], off
	v_lshlrev_b16_e32 v20, 12, v20
	v_lshl_add_u64 v[6:7], v[6:7], 0, 16
	s_waitcnt vmcnt(2)
	v_sub_f32_e32 v12, v22, v8
	v_fma_f32 v12, v9, v12, 0.5
	v_cvt_i32_f32_e32 v22, v12
	s_waitcnt vmcnt(1)
	v_sub_f32_e32 v10, v16, v8
	s_waitcnt vmcnt(0)
	v_sub_f32_e32 v11, v23, v8
	v_fma_f32 v10, v9, v10, 0.5
	v_lshrrev_b16_e32 v12, 4, v22
	v_and_b32_e32 v12, 1, v12
	v_lshlrev_b32_sdwa v24, s0, v12 dst_sel:DWORD dst_unused:UNUSED_PAD src0_sel:DWORD src1_sel:WORD_0
	s_or_b32 s0, s2, 19
	v_lshl_add_u64 v[12:13], s[0:1], 2, v[14:15]
	global_load_dword v25, v[12:13], off
	v_fma_f32 v11, v9, v11, 0.5
	v_sub_f32_e32 v16, v17, v8
	v_cvt_i32_f32_e32 v10, v10
	v_cvt_i32_f32_e32 v11, v11
	v_fma_f32 v16, v9, v16, 0.5
	v_cvt_i32_f32_e32 v16, v16
	v_sub_f32_e32 v17, v18, v8
	v_sub_f32_e32 v18, v19, v8
	v_lshlrev_b16_e32 v19, 4, v11
	v_lshrrev_b16_e32 v23, 4, v10
	v_lshrrev_b16_e32 v11, 4, v11
	v_bitop3_b16 v10, v19, v10, 15 bitop3:0xf8
	v_and_b32_e32 v19, 1, v23
	v_and_b32_e32 v11, 1, v11
	v_and_b32_sdwa v26, v16, v0 dst_sel:BYTE_1 dst_unused:UNUSED_PAD src0_sel:DWORD src1_sel:DWORD
	v_lshlrev_b32_sdwa v19, s2, v19 dst_sel:DWORD dst_unused:UNUSED_PAD src0_sel:DWORD src1_sel:WORD_0
	v_lshlrev_b32_sdwa v11, s6, v11 dst_sel:DWORD dst_unused:UNUSED_PAD src0_sel:DWORD src1_sel:WORD_0
	v_or3_b32 v1, v19, v1, v11
	v_or_b32_e32 v11, v20, v26
	v_fma_f32 v17, v9, v17, 0.5
	v_bitop3_b16 v19, v10, v11, s4 bitop3:0xec
	v_fma_f32 v18, v9, v18, 0.5
	v_cvt_i32_f32_e32 v17, v17
	v_cvt_i32_f32_e32 v18, v18
	v_lshrrev_b16_e32 v16, 4, v16
	v_and_b32_e32 v16, 1, v16
	v_lshrrev_b16_e32 v27, 4, v17
	v_lshlrev_b32_sdwa v16, s7, v16 dst_sel:DWORD dst_unused:UNUSED_PAD src0_sel:DWORD src1_sel:WORD_0
	v_and_b32_sdwa v28, v18, v0 dst_sel:BYTE_1 dst_unused:UNUSED_PAD src0_sel:DWORD src1_sel:DWORD
	v_lshrrev_b16_e32 v18, 4, v18
	v_and_b32_e32 v23, 1, v27
	v_or3_b32 v1, v16, v1, v21
	v_lshlrev_b16_e32 v10, 4, v22
	v_and_b32_e32 v18, 1, v18
	v_lshlrev_b32_sdwa v23, s8, v23 dst_sel:DWORD dst_unused:UNUSED_PAD src0_sel:DWORD src1_sel:WORD_0
	v_bitop3_b16 v10, v10, v17, 15 bitop3:0xf8
	v_lshl_add_u64 v[12:13], v[4:5], 0, s[2:3]
	v_and_b32_e32 v18, 0xffff, v18
	v_or3_b32 v1, v23, v1, v24
	s_add_u32 s2, s2, 4
	v_lshl_or_b32 v1, v18, s9, v1
	s_addc_u32 s3, s3, 0
	s_cmp_lg_u32 s2, 16
	s_waitcnt vmcnt(0)
	v_sub_f32_e32 v11, v25, v8
	v_fma_f32 v11, v9, v11, 0.5
	v_cvt_i32_f32_e32 v11, v11
	v_lshlrev_b16_e32 v16, 12, v11
	v_lshrrev_b16_e32 v11, 4, v11
	v_or_b32_e32 v16, v16, v28
	v_and_b32_e32 v11, 1, v11
	v_bitop3_b16 v10, v10, v16, s4 bitop3:0xec
	v_lshlrev_b32_sdwa v16, s0, v11 dst_sel:DWORD dst_unused:UNUSED_PAD src0_sel:DWORD src1_sel:WORD_0
	v_lshlrev_b32_e32 v17, 16, v10
	v_or_b32_e32 v11, v1, v16
	v_bitop3_b32 v10, v1, s5, v16 bitop3:0xc8
	v_or_b32_sdwa v16, v19, v17 dst_sel:DWORD dst_unused:UNUSED_PAD src0_sel:WORD_0 src1_sel:DWORD
	global_store_dword v[12:13], v16, off offset:8
	s_cbranch_scc1 .LBB15_2
; %bb.3:
	s_mov_b32 s0, 0xffff
	v_bfi_b32 v0, s0, v1, v11
	global_store_dword v[2:3], v0, off offset:4
.LBB15_4:
	s_endpgm
	.section	.rodata,"a",@progbits
	.p2align	6, 0x0
	.amdhsa_kernel _ZL16k_set_rows_quantIi10block_q5_1Li32ETnPFvPKfPT0_EXadL_ZL23quantize_f32_q5_1_blockS2_PS0_EEEvS2_PKT_S4_llllllllllllll15HIP_vector_typeIjLj3EESC_SC_SC_SC_
		.amdhsa_group_segment_fixed_size 0
		.amdhsa_private_segment_fixed_size 0
		.amdhsa_kernarg_size 456
		.amdhsa_user_sgpr_count 2
		.amdhsa_user_sgpr_dispatch_ptr 0
		.amdhsa_user_sgpr_queue_ptr 0
		.amdhsa_user_sgpr_kernarg_segment_ptr 1
		.amdhsa_user_sgpr_dispatch_id 0
		.amdhsa_user_sgpr_kernarg_preload_length 0
		.amdhsa_user_sgpr_kernarg_preload_offset 0
		.amdhsa_user_sgpr_private_segment_size 0
		.amdhsa_uses_dynamic_stack 0
		.amdhsa_enable_private_segment 0
		.amdhsa_system_sgpr_workgroup_id_x 1
		.amdhsa_system_sgpr_workgroup_id_y 0
		.amdhsa_system_sgpr_workgroup_id_z 0
		.amdhsa_system_sgpr_workgroup_info 0
		.amdhsa_system_vgpr_workitem_id 0
		.amdhsa_next_free_vgpr 46
		.amdhsa_next_free_sgpr 40
		.amdhsa_accum_offset 48
		.amdhsa_reserve_vcc 1
		.amdhsa_float_round_mode_32 0
		.amdhsa_float_round_mode_16_64 0
		.amdhsa_float_denorm_mode_32 3
		.amdhsa_float_denorm_mode_16_64 3
		.amdhsa_dx10_clamp 1
		.amdhsa_ieee_mode 1
		.amdhsa_fp16_overflow 0
		.amdhsa_tg_split 0
		.amdhsa_exception_fp_ieee_invalid_op 0
		.amdhsa_exception_fp_denorm_src 0
		.amdhsa_exception_fp_ieee_div_zero 0
		.amdhsa_exception_fp_ieee_overflow 0
		.amdhsa_exception_fp_ieee_underflow 0
		.amdhsa_exception_fp_ieee_inexact 0
		.amdhsa_exception_int_div_zero 0
	.end_amdhsa_kernel
	.section	.text._ZL16k_set_rows_quantIi10block_q5_1Li32ETnPFvPKfPT0_EXadL_ZL23quantize_f32_q5_1_blockS2_PS0_EEEvS2_PKT_S4_llllllllllllll15HIP_vector_typeIjLj3EESC_SC_SC_SC_,"axG",@progbits,_ZL16k_set_rows_quantIi10block_q5_1Li32ETnPFvPKfPT0_EXadL_ZL23quantize_f32_q5_1_blockS2_PS0_EEEvS2_PKT_S4_llllllllllllll15HIP_vector_typeIjLj3EESC_SC_SC_SC_,comdat
.Lfunc_end15:
	.size	_ZL16k_set_rows_quantIi10block_q5_1Li32ETnPFvPKfPT0_EXadL_ZL23quantize_f32_q5_1_blockS2_PS0_EEEvS2_PKT_S4_llllllllllllll15HIP_vector_typeIjLj3EESC_SC_SC_SC_, .Lfunc_end15-_ZL16k_set_rows_quantIi10block_q5_1Li32ETnPFvPKfPT0_EXadL_ZL23quantize_f32_q5_1_blockS2_PS0_EEEvS2_PKT_S4_llllllllllllll15HIP_vector_typeIjLj3EESC_SC_SC_SC_
                                        ; -- End function
	.set _ZL16k_set_rows_quantIi10block_q5_1Li32ETnPFvPKfPT0_EXadL_ZL23quantize_f32_q5_1_blockS2_PS0_EEEvS2_PKT_S4_llllllllllllll15HIP_vector_typeIjLj3EESC_SC_SC_SC_.num_vgpr, 46
	.set _ZL16k_set_rows_quantIi10block_q5_1Li32ETnPFvPKfPT0_EXadL_ZL23quantize_f32_q5_1_blockS2_PS0_EEEvS2_PKT_S4_llllllllllllll15HIP_vector_typeIjLj3EESC_SC_SC_SC_.num_agpr, 0
	.set _ZL16k_set_rows_quantIi10block_q5_1Li32ETnPFvPKfPT0_EXadL_ZL23quantize_f32_q5_1_blockS2_PS0_EEEvS2_PKT_S4_llllllllllllll15HIP_vector_typeIjLj3EESC_SC_SC_SC_.numbered_sgpr, 40
	.set _ZL16k_set_rows_quantIi10block_q5_1Li32ETnPFvPKfPT0_EXadL_ZL23quantize_f32_q5_1_blockS2_PS0_EEEvS2_PKT_S4_llllllllllllll15HIP_vector_typeIjLj3EESC_SC_SC_SC_.num_named_barrier, 0
	.set _ZL16k_set_rows_quantIi10block_q5_1Li32ETnPFvPKfPT0_EXadL_ZL23quantize_f32_q5_1_blockS2_PS0_EEEvS2_PKT_S4_llllllllllllll15HIP_vector_typeIjLj3EESC_SC_SC_SC_.private_seg_size, 0
	.set _ZL16k_set_rows_quantIi10block_q5_1Li32ETnPFvPKfPT0_EXadL_ZL23quantize_f32_q5_1_blockS2_PS0_EEEvS2_PKT_S4_llllllllllllll15HIP_vector_typeIjLj3EESC_SC_SC_SC_.uses_vcc, 1
	.set _ZL16k_set_rows_quantIi10block_q5_1Li32ETnPFvPKfPT0_EXadL_ZL23quantize_f32_q5_1_blockS2_PS0_EEEvS2_PKT_S4_llllllllllllll15HIP_vector_typeIjLj3EESC_SC_SC_SC_.uses_flat_scratch, 0
	.set _ZL16k_set_rows_quantIi10block_q5_1Li32ETnPFvPKfPT0_EXadL_ZL23quantize_f32_q5_1_blockS2_PS0_EEEvS2_PKT_S4_llllllllllllll15HIP_vector_typeIjLj3EESC_SC_SC_SC_.has_dyn_sized_stack, 0
	.set _ZL16k_set_rows_quantIi10block_q5_1Li32ETnPFvPKfPT0_EXadL_ZL23quantize_f32_q5_1_blockS2_PS0_EEEvS2_PKT_S4_llllllllllllll15HIP_vector_typeIjLj3EESC_SC_SC_SC_.has_recursion, 0
	.set _ZL16k_set_rows_quantIi10block_q5_1Li32ETnPFvPKfPT0_EXadL_ZL23quantize_f32_q5_1_blockS2_PS0_EEEvS2_PKT_S4_llllllllllllll15HIP_vector_typeIjLj3EESC_SC_SC_SC_.has_indirect_call, 0
	.section	.AMDGPU.csdata,"",@progbits
; Kernel info:
; codeLenInByte = 2412
; TotalNumSgprs: 46
; NumVgprs: 46
; NumAgprs: 0
; TotalNumVgprs: 46
; ScratchSize: 0
; MemoryBound: 0
; FloatMode: 240
; IeeeMode: 1
; LDSByteSize: 0 bytes/workgroup (compile time only)
; SGPRBlocks: 5
; VGPRBlocks: 5
; NumSGPRsForWavesPerEU: 46
; NumVGPRsForWavesPerEU: 46
; AccumOffset: 48
; Occupancy: 8
; WaveLimiterHint : 1
; COMPUTE_PGM_RSRC2:SCRATCH_EN: 0
; COMPUTE_PGM_RSRC2:USER_SGPR: 2
; COMPUTE_PGM_RSRC2:TRAP_HANDLER: 0
; COMPUTE_PGM_RSRC2:TGID_X_EN: 1
; COMPUTE_PGM_RSRC2:TGID_Y_EN: 0
; COMPUTE_PGM_RSRC2:TGID_Z_EN: 0
; COMPUTE_PGM_RSRC2:TIDIG_COMP_CNT: 0
; COMPUTE_PGM_RSRC3_GFX90A:ACCUM_OFFSET: 11
; COMPUTE_PGM_RSRC3_GFX90A:TG_SPLIT: 0
	.section	.text._ZL16k_set_rows_quantIi10block_q8_0Li32ETnPFvPKfPT0_EXadL_ZL23quantize_f32_q8_0_blockS2_PS0_EEEvS2_PKT_S4_llllllllllllll15HIP_vector_typeIjLj3EESC_SC_SC_SC_,"axG",@progbits,_ZL16k_set_rows_quantIi10block_q8_0Li32ETnPFvPKfPT0_EXadL_ZL23quantize_f32_q8_0_blockS2_PS0_EEEvS2_PKT_S4_llllllllllllll15HIP_vector_typeIjLj3EESC_SC_SC_SC_,comdat
	.globl	_ZL16k_set_rows_quantIi10block_q8_0Li32ETnPFvPKfPT0_EXadL_ZL23quantize_f32_q8_0_blockS2_PS0_EEEvS2_PKT_S4_llllllllllllll15HIP_vector_typeIjLj3EESC_SC_SC_SC_ ; -- Begin function _ZL16k_set_rows_quantIi10block_q8_0Li32ETnPFvPKfPT0_EXadL_ZL23quantize_f32_q8_0_blockS2_PS0_EEEvS2_PKT_S4_llllllllllllll15HIP_vector_typeIjLj3EESC_SC_SC_SC_
	.p2align	8
	.type	_ZL16k_set_rows_quantIi10block_q8_0Li32ETnPFvPKfPT0_EXadL_ZL23quantize_f32_q8_0_blockS2_PS0_EEEvS2_PKT_S4_llllllllllllll15HIP_vector_typeIjLj3EESC_SC_SC_SC_,@function
_ZL16k_set_rows_quantIi10block_q8_0Li32ETnPFvPKfPT0_EXadL_ZL23quantize_f32_q8_0_blockS2_PS0_EEEvS2_PKT_S4_llllllllllllll15HIP_vector_typeIjLj3EESC_SC_SC_SC_: ; @_ZL16k_set_rows_quantIi10block_q8_0Li32ETnPFvPKfPT0_EXadL_ZL23quantize_f32_q8_0_blockS2_PS0_EEEvS2_PKT_S4_llllllllllllll15HIP_vector_typeIjLj3EESC_SC_SC_SC_
; %bb.0:
	s_load_dword s3, s[0:1], 0xd4
	s_load_dwordx2 s[4:5], s[0:1], 0x18
	v_mov_b32_e32 v1, 0
	v_mov_b32_e32 v2, s2
	s_waitcnt lgkmcnt(0)
	s_and_b32 s3, s3, 0xffff
	v_mad_u64_u32 v[2:3], s[2:3], s3, v2, v[0:1]
	v_cmp_gt_i64_e32 vcc, s[4:5], v[2:3]
	s_and_saveexec_b64 s[2:3], vcc
	s_cbranch_execz .LBB16_2
; %bb.1:
	s_load_dwordx4 s[20:23], s[0:1], 0x0
	s_load_dwordx2 s[2:3], s[0:1], 0x10
	s_load_dwordx16 s[4:19], s[0:1], 0x40
	s_load_dwordx8 s[24:31], s[0:1], 0x88
	s_load_dword s33, s[0:1], 0xc0
	s_load_dwordx2 s[34:35], s[0:1], 0xb8
	s_load_dwordx4 s[36:39], s[0:1], 0xa8
	v_lshlrev_b32_e32 v0, 5, v2
	s_waitcnt lgkmcnt(0)
	v_mul_hi_u32 v2, s24, v0
	v_add_u32_e32 v2, v0, v2
	v_lshrrev_b32_e32 v2, s25, v2
	v_mul_lo_u32 v3, v2, s26
	v_sub_u32_e32 v0, v0, v3
	v_mul_hi_u32 v3, v2, s27
	v_add_u32_e32 v3, v2, v3
	v_lshrrev_b32_e32 v3, s28, v3
	v_mul_lo_u32 v4, v3, s29
	v_sub_u32_e32 v9, v2, v4
	;; [unrolled: 5-line block ×5, first 2 shown]
	v_mad_u64_u32 v[2:3], s[24:25], s10, v9, 0
	v_mov_b32_e32 v4, v3
	v_mad_u64_u32 v[4:5], s[10:11], s11, v9, v[4:5]
	v_mov_b32_e32 v3, v4
	;; [unrolled: 2-line block ×3, first 2 shown]
	v_mad_u64_u32 v[6:7], s[10:11], s13, v7, v[6:7]
	v_lshl_add_u64 v[2:3], v[2:3], 2, s[22:23]
	v_mov_b32_e32 v5, v6
	v_lshl_add_u64 v[2:3], v[4:5], 2, v[2:3]
	v_mad_u64_u32 v[4:5], s[10:11], s14, v8, 0
	v_mov_b32_e32 v6, v5
	v_mad_u64_u32 v[6:7], s[10:11], s15, v8, v[6:7]
	v_mov_b32_e32 v5, v6
	;; [unrolled: 2-line block ×5, first 2 shown]
	v_mad_u64_u32 v[10:11], s[4:5], s7, v44, v[10:11]
	v_lshl_add_u64 v[6:7], v[6:7], 2, s[20:21]
	v_mov_b32_e32 v9, v10
	v_lshl_add_u64 v[6:7], v[8:9], 2, v[6:7]
	v_mad_u64_u32 v[8:9], s[4:5], s8, v38, 0
	v_mov_b32_e32 v10, v9
	v_mad_u64_u32 v[10:11], s[4:5], s9, v38, v[10:11]
	v_mov_b32_e32 v9, v10
	v_lshl_add_u64 v[6:7], v[8:9], 2, v[6:7]
	v_lshl_add_u64 v[26:27], v[0:1], 2, v[6:7]
	global_load_dwordx4 v[28:31], v[26:27], off
	v_lshl_add_u64 v[36:37], v[4:5], 2, v[2:3]
	global_load_dword v40, v[36:37], off
	global_load_dwordx4 v[32:35], v[26:27], off offset:16
	global_load_dwordx4 v[18:21], v[26:27], off offset:32
	;; [unrolled: 1-line block ×7, first 2 shown]
	s_load_dwordx2 s[0:1], s[0:1], 0x80
	v_mov_b32_e32 v27, v1
	s_mov_b32 s6, 0xf0f0f0f1
	v_mov_b32_e32 v37, v1
	s_mov_b32 s7, 0xf0f0f0f0
	v_mov_b32_e32 v39, v1
	v_lshrrev_b32_e32 v0, 5, v0
	s_waitcnt vmcnt(7)
	v_mul_lo_u32 v36, s17, v40
	v_max3_f32 v26, |v28|, 0, |v29|
	v_max3_f32 v45, v26, |v30|, |v31|
	v_ashrrev_i32_e32 v26, 31, v40
	v_mad_u64_u32 v[40:41], s[4:5], s16, v40, 0
	v_mul_lo_u32 v26, s16, v26
	v_add3_u32 v41, v41, v26, v36
	s_waitcnt lgkmcnt(0)
	v_mad_u64_u32 v[40:41], s[4:5], s0, v38, v[40:41]
	v_mov_b32_e32 v26, v41
	v_mad_u64_u32 v[42:43], s[0:1], s1, v38, v[26:27]
	v_mov_b32_e32 v41, v42
	;; [unrolled: 2-line block ×3, first 2 shown]
	v_mul_hi_u32 v26, v40, s6
	v_mad_u64_u32 v[42:43], s[0:1], s19, v44, v[36:37]
	v_mad_u64_u32 v[26:27], s[0:1], v42, s6, v[26:27]
	v_mov_b32_e32 v36, v27
	v_mov_b32_e32 v27, v1
	v_mad_u64_u32 v[26:27], s[0:1], v40, s7, v[26:27]
	v_mov_b32_e32 v38, v27
	v_lshl_add_u64 v[26:27], v[36:37], 0, v[38:39]
	v_mad_u64_u32 v[26:27], s[0:1], v42, s7, v[26:27]
	v_alignbit_b32 v1, v27, v26, 5
	v_lshrrev_b32_e32 v37, 5, v27
	v_mad_u64_u32 v[26:27], s[0:1], v1, 34, s[2:3]
	s_waitcnt vmcnt(6)
	v_max3_f32 v1, v45, |v32|, |v33|
	v_max3_f32 v1, v1, |v34|, |v35|
	s_waitcnt vmcnt(5)
	v_max3_f32 v1, v1, |v18|, |v19|
	v_max3_f32 v1, v1, |v20|, |v21|
	;; [unrolled: 3-line block ×7, first 2 shown]
	s_mov_b32 s2, 0x42fe0000
	v_div_scale_f32 v38, s[0:1], s2, s2, v1
	v_rcp_f32_e32 v39, v38
	v_mov_b32_e32 v36, v27
	v_mad_u64_u32 v[36:37], s[0:1], v37, 34, v[36:37]
	v_mov_b32_e32 v27, v36
	v_fma_f32 v36, -v38, v39, 1.0
	v_fmac_f32_e32 v39, v36, v39
	v_div_scale_f32 v36, vcc, v1, s2, v1
	v_mul_f32_e32 v37, v36, v39
	v_fma_f32 v40, -v38, v37, v36
	v_fmac_f32_e32 v37, v40, v39
	v_fma_f32 v36, -v38, v37, v36
	v_div_fmas_f32 v36, v36, v39, v37
	v_div_fixup_f32 v36, v36, s2, v1
	v_div_scale_f32 v37, s[0:1], v36, v36, 1.0
	v_rcp_f32_e32 v38, v37
	v_mad_u64_u32 v[0:1], s[0:1], v0, 34, v[26:27]
	v_fma_f32 v26, -v37, v38, 1.0
	v_fmac_f32_e32 v38, v26, v38
	v_div_scale_f32 v26, vcc, 1.0, v36, 1.0
	v_mul_f32_e32 v27, v26, v38
	v_fma_f32 v39, -v37, v27, v26
	v_fmac_f32_e32 v27, v39, v38
	v_fma_f32 v26, -v37, v27, v26
	v_div_fmas_f32 v26, v26, v38, v27
	v_cvt_f16_f32_e32 v27, v36
	v_div_fixup_f32 v26, v26, v36, 1.0
	v_cmp_neq_f32_e32 vcc, 0, v36
	global_store_short v[0:1], v27, off
	s_nop 0
	v_cndmask_b32_e32 v26, 0, v26, vcc
	v_pk_mul_f32 v[30:31], v[30:31], v[26:27] op_sel_hi:[1,0]
	v_pk_mul_f32 v[32:33], v[32:33], v[26:27] op_sel_hi:[1,0]
	;; [unrolled: 1-line block ×4, first 2 shown]
	v_trunc_f32_e32 v27, v30
	v_sub_f32_e32 v36, v30, v27
	v_cmp_ge_f32_e64 s[0:1], |v36|, 0.5
	s_nop 1
	v_cndmask_b32_e64 v36, 0, 1.0, s[0:1]
	s_brev_b32 s0, -2
	v_bfi_b32 v30, s0, v36, v30
	v_add_f32_e32 v27, v27, v30
	v_trunc_f32_e32 v30, v31
	v_sub_f32_e32 v36, v31, v30
	v_cmp_ge_f32_e64 s[2:3], |v36|, 0.5
	v_cvt_i32_f32_e32 v27, v27
	s_movk_i32 s1, 0xff
	v_cndmask_b32_e64 v36, 0, 1.0, s[2:3]
	v_bfi_b32 v31, s0, v36, v31
	v_add_f32_e32 v30, v30, v31
	v_trunc_f32_e32 v31, v28
	v_sub_f32_e32 v36, v28, v31
	v_cmp_ge_f32_e64 s[2:3], |v36|, 0.5
	v_cvt_i32_f32_sdwa v30, v30 dst_sel:BYTE_1 dst_unused:UNUSED_PAD src0_sel:DWORD
	s_nop 0
	v_cndmask_b32_e64 v36, 0, 1.0, s[2:3]
	v_bfi_b32 v28, s0, v36, v28
	v_add_f32_e32 v28, v31, v28
	v_trunc_f32_e32 v31, v29
	v_sub_f32_e32 v36, v29, v31
	v_cmp_ge_f32_e64 s[2:3], |v36|, 0.5
	v_cvt_i32_f32_e32 v28, v28
	v_bitop3_b16 v27, v27, v30, s1 bitop3:0xec
	v_cndmask_b32_e64 v36, 0, 1.0, s[2:3]
	v_bfi_b32 v29, s0, v36, v29
	v_trunc_f32_e32 v36, v34
	v_sub_f32_e32 v37, v34, v36
	v_cmp_ge_f32_e64 s[2:3], |v37|, 0.5
	v_add_f32_e32 v29, v31, v29
	v_lshlrev_b32_e32 v27, 16, v27
	v_cndmask_b32_e64 v37, 0, 1.0, s[2:3]
	v_bfi_b32 v34, s0, v37, v34
	v_add_f32_e32 v34, v36, v34
	v_trunc_f32_e32 v36, v35
	v_sub_f32_e32 v37, v35, v36
	v_cmp_ge_f32_e64 s[2:3], |v37|, 0.5
	v_pk_mul_f32 v[20:21], v[20:21], v[26:27] op_sel_hi:[1,0]
	v_pk_mul_f32 v[22:23], v[22:23], v[26:27] op_sel_hi:[1,0]
	v_cndmask_b32_e64 v37, 0, 1.0, s[2:3]
	v_bfi_b32 v35, s0, v37, v35
	v_add_f32_e32 v35, v36, v35
	v_trunc_f32_e32 v36, v32
	v_sub_f32_e32 v37, v32, v36
	v_cmp_ge_f32_e64 s[2:3], |v37|, 0.5
	v_pk_mul_f32 v[24:25], v[24:25], v[26:27] op_sel_hi:[1,0]
	v_pk_mul_f32 v[18:19], v[18:19], v[26:27] op_sel_hi:[1,0]
	v_cndmask_b32_e64 v37, 0, 1.0, s[2:3]
	v_bfi_b32 v32, s0, v37, v32
	v_add_f32_e32 v32, v36, v32
	v_trunc_f32_e32 v36, v33
	v_sub_f32_e32 v37, v33, v36
	v_cmp_ge_f32_e64 s[2:3], |v37|, 0.5
	v_cvt_i32_f32_e32 v32, v32
	v_cvt_i32_f32_sdwa v35, v35 dst_sel:BYTE_1 dst_unused:UNUSED_PAD src0_sel:DWORD
	v_cndmask_b32_e64 v37, 0, 1.0, s[2:3]
	v_bfi_b32 v33, s0, v37, v33
	v_add_f32_e32 v33, v36, v33
	v_cvt_i32_f32_sdwa v33, v33 dst_sel:BYTE_1 dst_unused:UNUSED_PAD src0_sel:DWORD
	v_cvt_i32_f32_e32 v34, v34
	v_bitop3_b16 v31, v32, v33, s1 bitop3:0xec
	v_cvt_i32_f32_sdwa v33, v29 dst_sel:BYTE_1 dst_unused:UNUSED_PAD src0_sel:DWORD
	v_bitop3_b16 v32, v34, v35, s1 bitop3:0xec
	v_lshlrev_b32_e32 v29, 16, v32
	v_or_b32_sdwa v29, v31, v29 dst_sel:DWORD dst_unused:UNUSED_PAD src0_sel:WORD_0 src1_sel:DWORD
	v_bitop3_b16 v28, v28, v33, s1 bitop3:0xec
	v_or_b32_sdwa v28, v28, v27 dst_sel:DWORD dst_unused:UNUSED_PAD src0_sel:WORD_0 src1_sel:DWORD
	v_trunc_f32_e32 v27, v20
	v_sub_f32_e32 v30, v20, v27
	v_cmp_ge_f32_e64 s[2:3], |v30|, 0.5
	v_trunc_f32_e32 v31, v24
	v_sub_f32_e32 v32, v24, v31
	v_cndmask_b32_e64 v30, 0, 1.0, s[2:3]
	v_bfi_b32 v20, s0, v30, v20
	v_add_f32_e32 v20, v27, v20
	v_trunc_f32_e32 v27, v21
	v_sub_f32_e32 v30, v21, v27
	v_cmp_ge_f32_e64 s[2:3], |v30|, 0.5
	v_cvt_i32_f32_e32 v20, v20
	s_nop 0
	v_cndmask_b32_e64 v30, 0, 1.0, s[2:3]
	v_bfi_b32 v21, s0, v30, v21
	v_add_f32_e32 v21, v27, v21
	v_trunc_f32_e32 v27, v18
	v_sub_f32_e32 v30, v18, v27
	v_cmp_ge_f32_e64 s[2:3], |v30|, 0.5
	v_cvt_i32_f32_sdwa v21, v21 dst_sel:BYTE_1 dst_unused:UNUSED_PAD src0_sel:DWORD
	s_nop 0
	v_cndmask_b32_e64 v30, 0, 1.0, s[2:3]
	v_bfi_b32 v18, s0, v30, v18
	v_add_f32_e32 v18, v27, v18
	v_trunc_f32_e32 v27, v19
	v_sub_f32_e32 v30, v19, v27
	v_cmp_ge_f32_e64 s[2:3], |v30|, 0.5
	v_cvt_i32_f32_e32 v18, v18
	v_pk_mul_f32 v[12:13], v[12:13], v[26:27] op_sel_hi:[1,0]
	v_cndmask_b32_e64 v30, 0, 1.0, s[2:3]
	v_cmp_ge_f32_e64 s[2:3], |v32|, 0.5
	v_bfi_b32 v19, s0, v30, v19
	v_add_f32_e32 v19, v27, v19
	v_cndmask_b32_e64 v32, 0, 1.0, s[2:3]
	v_bfi_b32 v24, s0, v32, v24
	v_add_f32_e32 v24, v31, v24
	v_trunc_f32_e32 v31, v25
	v_sub_f32_e32 v32, v25, v31
	v_cmp_ge_f32_e64 s[2:3], |v32|, 0.5
	v_cvt_i32_f32_sdwa v19, v19 dst_sel:BYTE_1 dst_unused:UNUSED_PAD src0_sel:DWORD
	v_pk_mul_f32 v[10:11], v[10:11], v[26:27] op_sel_hi:[1,0]
	v_cndmask_b32_e64 v32, 0, 1.0, s[2:3]
	v_bfi_b32 v25, s0, v32, v25
	v_add_f32_e32 v25, v31, v25
	v_trunc_f32_e32 v31, v22
	v_sub_f32_e32 v32, v22, v31
	v_cmp_ge_f32_e64 s[2:3], |v32|, 0.5
	v_bitop3_b16 v18, v18, v19, s1 bitop3:0xec
	v_bitop3_b16 v19, v20, v21, s1 bitop3:0xec
	v_cndmask_b32_e64 v32, 0, 1.0, s[2:3]
	v_bfi_b32 v22, s0, v32, v22
	v_add_f32_e32 v22, v31, v22
	v_trunc_f32_e32 v31, v23
	v_lshlrev_b32_e32 v19, 16, v19
	v_sub_f32_e32 v32, v23, v31
	v_or_b32_sdwa v30, v18, v19 dst_sel:DWORD dst_unused:UNUSED_PAD src0_sel:WORD_0 src1_sel:DWORD
	v_trunc_f32_e32 v18, v12
	v_cmp_ge_f32_e64 s[2:3], |v32|, 0.5
	v_sub_f32_e32 v19, v12, v18
	v_pk_mul_f32 v[16:17], v[16:17], v[26:27] op_sel_hi:[1,0]
	v_cndmask_b32_e64 v32, 0, 1.0, s[2:3]
	v_cmp_ge_f32_e64 s[2:3], |v19|, 0.5
	v_trunc_f32_e32 v20, v16
	v_sub_f32_e32 v21, v16, v20
	v_cndmask_b32_e64 v19, 0, 1.0, s[2:3]
	v_bfi_b32 v12, s0, v19, v12
	v_add_f32_e32 v12, v18, v12
	v_trunc_f32_e32 v18, v13
	v_sub_f32_e32 v19, v13, v18
	v_cmp_ge_f32_e64 s[2:3], |v19|, 0.5
	v_pk_mul_f32 v[14:15], v[14:15], v[26:27] op_sel_hi:[1,0]
	v_cvt_i32_f32_e32 v12, v12
	v_cndmask_b32_e64 v19, 0, 1.0, s[2:3]
	v_bfi_b32 v13, s0, v19, v13
	v_add_f32_e32 v13, v18, v13
	v_trunc_f32_e32 v18, v10
	v_sub_f32_e32 v19, v10, v18
	v_cmp_ge_f32_e64 s[2:3], |v19|, 0.5
	v_cvt_i32_f32_sdwa v13, v13 dst_sel:BYTE_1 dst_unused:UNUSED_PAD src0_sel:DWORD
	v_pk_mul_f32 v[4:5], v[4:5], v[26:27] op_sel_hi:[1,0]
	v_cndmask_b32_e64 v19, 0, 1.0, s[2:3]
	v_bfi_b32 v10, s0, v19, v10
	v_add_f32_e32 v10, v18, v10
	v_trunc_f32_e32 v18, v11
	v_sub_f32_e32 v19, v11, v18
	v_cmp_ge_f32_e64 s[2:3], |v19|, 0.5
	v_cvt_i32_f32_e32 v10, v10
	v_bitop3_b16 v12, v12, v13, s1 bitop3:0xec
	v_cndmask_b32_e64 v19, 0, 1.0, s[2:3]
	v_cmp_ge_f32_e64 s[2:3], |v21|, 0.5
	v_bfi_b32 v11, s0, v19, v11
	v_add_f32_e32 v11, v18, v11
	v_cndmask_b32_e64 v21, 0, 1.0, s[2:3]
	v_bfi_b32 v16, s0, v21, v16
	v_add_f32_e32 v16, v20, v16
	v_trunc_f32_e32 v20, v17
	v_sub_f32_e32 v21, v17, v20
	v_cmp_ge_f32_e64 s[2:3], |v21|, 0.5
	v_cvt_i32_f32_e32 v16, v16
	v_lshlrev_b32_e32 v12, 16, v12
	v_cndmask_b32_e64 v21, 0, 1.0, s[2:3]
	v_bfi_b32 v17, s0, v21, v17
	v_add_f32_e32 v17, v20, v17
	v_trunc_f32_e32 v20, v14
	v_sub_f32_e32 v21, v14, v20
	v_cmp_ge_f32_e64 s[2:3], |v21|, 0.5
	v_cvt_i32_f32_sdwa v17, v17 dst_sel:BYTE_1 dst_unused:UNUSED_PAD src0_sel:DWORD
	v_pk_mul_f32 v[2:3], v[2:3], v[26:27] op_sel_hi:[1,0]
	v_cndmask_b32_e64 v21, 0, 1.0, s[2:3]
	v_bfi_b32 v14, s0, v21, v14
	v_add_f32_e32 v14, v20, v14
	v_trunc_f32_e32 v20, v15
	v_sub_f32_e32 v21, v15, v20
	v_cmp_ge_f32_e64 s[2:3], |v21|, 0.5
	v_cvt_i32_f32_e32 v14, v14
	v_pk_mul_f32 v[8:9], v[8:9], v[26:27] op_sel_hi:[1,0]
	v_cndmask_b32_e64 v21, 0, 1.0, s[2:3]
	v_bfi_b32 v15, s0, v21, v15
	v_add_f32_e32 v15, v20, v15
	v_cvt_i32_f32_sdwa v15, v15 dst_sel:BYTE_1 dst_unused:UNUSED_PAD src0_sel:DWORD
	v_pk_mul_f32 v[6:7], v[6:7], v[26:27] op_sel_hi:[1,0]
	v_bfi_b32 v23, s0, v32, v23
	v_add_f32_e32 v23, v31, v23
	v_bitop3_b16 v14, v14, v15, s1 bitop3:0xec
	v_bitop3_b16 v15, v16, v17, s1 bitop3:0xec
	v_cvt_i32_f32_sdwa v16, v11 dst_sel:BYTE_1 dst_unused:UNUSED_PAD src0_sel:DWORD
	v_lshlrev_b32_e32 v11, 16, v15
	v_or_b32_sdwa v11, v14, v11 dst_sel:DWORD dst_unused:UNUSED_PAD src0_sel:WORD_0 src1_sel:DWORD
	v_trunc_f32_e32 v14, v8
	v_bitop3_b16 v10, v10, v16, s1 bitop3:0xec
	v_or_b32_sdwa v10, v10, v12 dst_sel:DWORD dst_unused:UNUSED_PAD src0_sel:WORD_0 src1_sel:DWORD
	v_trunc_f32_e32 v12, v4
	v_sub_f32_e32 v13, v4, v12
	v_cmp_ge_f32_e64 s[2:3], |v13|, 0.5
	v_sub_f32_e32 v15, v8, v14
	v_cvt_i32_f32_sdwa v23, v23 dst_sel:BYTE_1 dst_unused:UNUSED_PAD src0_sel:DWORD
	v_cndmask_b32_e64 v13, 0, 1.0, s[2:3]
	v_bfi_b32 v4, s0, v13, v4
	v_add_f32_e32 v4, v12, v4
	v_trunc_f32_e32 v12, v5
	v_sub_f32_e32 v13, v5, v12
	v_cmp_ge_f32_e64 s[2:3], |v13|, 0.5
	v_cvt_i32_f32_e32 v22, v22
	v_cvt_i32_f32_sdwa v25, v25 dst_sel:BYTE_1 dst_unused:UNUSED_PAD src0_sel:DWORD
	v_cndmask_b32_e64 v13, 0, 1.0, s[2:3]
	v_bfi_b32 v5, s0, v13, v5
	v_add_f32_e32 v5, v12, v5
	v_trunc_f32_e32 v12, v2
	v_sub_f32_e32 v13, v2, v12
	v_cmp_ge_f32_e64 s[2:3], |v13|, 0.5
	v_cvt_i32_f32_e32 v24, v24
	;; [unrolled: 8-line block ×3, first 2 shown]
	v_cvt_i32_f32_e32 v4, v4
	v_cndmask_b32_e64 v13, 0, 1.0, s[2:3]
	v_cmp_ge_f32_e64 s[2:3], |v15|, 0.5
	v_bfi_b32 v3, s0, v13, v3
	v_add_f32_e32 v3, v12, v3
	v_cndmask_b32_e64 v15, 0, 1.0, s[2:3]
	v_bfi_b32 v8, s0, v15, v8
	v_add_f32_e32 v8, v14, v8
	v_trunc_f32_e32 v14, v9
	v_sub_f32_e32 v15, v9, v14
	v_cmp_ge_f32_e64 s[2:3], |v15|, 0.5
	v_cvt_i32_f32_e32 v8, v8
	v_cvt_i32_f32_sdwa v3, v3 dst_sel:BYTE_1 dst_unused:UNUSED_PAD src0_sel:DWORD
	v_cndmask_b32_e64 v15, 0, 1.0, s[2:3]
	v_bfi_b32 v9, s0, v15, v9
	v_add_f32_e32 v9, v14, v9
	v_trunc_f32_e32 v14, v6
	v_sub_f32_e32 v15, v6, v14
	v_cmp_ge_f32_e64 s[2:3], |v15|, 0.5
	v_cvt_i32_f32_sdwa v9, v9 dst_sel:BYTE_1 dst_unused:UNUSED_PAD src0_sel:DWORD
	v_bitop3_b16 v22, v22, v23, s1 bitop3:0xec
	v_cndmask_b32_e64 v15, 0, 1.0, s[2:3]
	v_bfi_b32 v6, s0, v15, v6
	v_add_f32_e32 v6, v14, v6
	v_trunc_f32_e32 v14, v7
	v_sub_f32_e32 v15, v7, v14
	v_cmp_ge_f32_e64 s[2:3], |v15|, 0.5
	v_cvt_i32_f32_e32 v6, v6
	v_bitop3_b16 v23, v24, v25, s1 bitop3:0xec
	v_cndmask_b32_e64 v15, 0, 1.0, s[2:3]
	v_bfi_b32 v7, s0, v15, v7
	v_add_f32_e32 v7, v14, v7
	v_cvt_i32_f32_sdwa v7, v7 dst_sel:BYTE_1 dst_unused:UNUSED_PAD src0_sel:DWORD
	v_bitop3_b16 v2, v2, v3, s1 bitop3:0xec
	v_bitop3_b16 v3, v4, v5, s1 bitop3:0xec
	v_lshlrev_b32_e32 v23, 16, v23
	v_bitop3_b16 v6, v6, v7, s1 bitop3:0xec
	v_bitop3_b16 v7, v8, v9, s1 bitop3:0xec
	v_lshlrev_b32_e32 v7, 16, v7
	v_lshlrev_b32_e32 v3, 16, v3
	v_or_b32_sdwa v31, v22, v23 dst_sel:DWORD dst_unused:UNUSED_PAD src0_sel:WORD_0 src1_sel:DWORD
	v_or_b32_sdwa v13, v6, v7 dst_sel:DWORD dst_unused:UNUSED_PAD src0_sel:WORD_0 src1_sel:DWORD
	;; [unrolled: 1-line block ×3, first 2 shown]
	global_store_dwordx4 v[0:1], v[28:31], off offset:2
	global_store_dwordx4 v[0:1], v[10:13], off offset:18
.LBB16_2:
	s_endpgm
	.section	.rodata,"a",@progbits
	.p2align	6, 0x0
	.amdhsa_kernel _ZL16k_set_rows_quantIi10block_q8_0Li32ETnPFvPKfPT0_EXadL_ZL23quantize_f32_q8_0_blockS2_PS0_EEEvS2_PKT_S4_llllllllllllll15HIP_vector_typeIjLj3EESC_SC_SC_SC_
		.amdhsa_group_segment_fixed_size 0
		.amdhsa_private_segment_fixed_size 0
		.amdhsa_kernarg_size 456
		.amdhsa_user_sgpr_count 2
		.amdhsa_user_sgpr_dispatch_ptr 0
		.amdhsa_user_sgpr_queue_ptr 0
		.amdhsa_user_sgpr_kernarg_segment_ptr 1
		.amdhsa_user_sgpr_dispatch_id 0
		.amdhsa_user_sgpr_kernarg_preload_length 0
		.amdhsa_user_sgpr_kernarg_preload_offset 0
		.amdhsa_user_sgpr_private_segment_size 0
		.amdhsa_uses_dynamic_stack 0
		.amdhsa_enable_private_segment 0
		.amdhsa_system_sgpr_workgroup_id_x 1
		.amdhsa_system_sgpr_workgroup_id_y 0
		.amdhsa_system_sgpr_workgroup_id_z 0
		.amdhsa_system_sgpr_workgroup_info 0
		.amdhsa_system_vgpr_workitem_id 0
		.amdhsa_next_free_vgpr 46
		.amdhsa_next_free_sgpr 40
		.amdhsa_accum_offset 48
		.amdhsa_reserve_vcc 1
		.amdhsa_float_round_mode_32 0
		.amdhsa_float_round_mode_16_64 0
		.amdhsa_float_denorm_mode_32 3
		.amdhsa_float_denorm_mode_16_64 3
		.amdhsa_dx10_clamp 1
		.amdhsa_ieee_mode 1
		.amdhsa_fp16_overflow 0
		.amdhsa_tg_split 0
		.amdhsa_exception_fp_ieee_invalid_op 0
		.amdhsa_exception_fp_denorm_src 0
		.amdhsa_exception_fp_ieee_div_zero 0
		.amdhsa_exception_fp_ieee_overflow 0
		.amdhsa_exception_fp_ieee_underflow 0
		.amdhsa_exception_fp_ieee_inexact 0
		.amdhsa_exception_int_div_zero 0
	.end_amdhsa_kernel
	.section	.text._ZL16k_set_rows_quantIi10block_q8_0Li32ETnPFvPKfPT0_EXadL_ZL23quantize_f32_q8_0_blockS2_PS0_EEEvS2_PKT_S4_llllllllllllll15HIP_vector_typeIjLj3EESC_SC_SC_SC_,"axG",@progbits,_ZL16k_set_rows_quantIi10block_q8_0Li32ETnPFvPKfPT0_EXadL_ZL23quantize_f32_q8_0_blockS2_PS0_EEEvS2_PKT_S4_llllllllllllll15HIP_vector_typeIjLj3EESC_SC_SC_SC_,comdat
.Lfunc_end16:
	.size	_ZL16k_set_rows_quantIi10block_q8_0Li32ETnPFvPKfPT0_EXadL_ZL23quantize_f32_q8_0_blockS2_PS0_EEEvS2_PKT_S4_llllllllllllll15HIP_vector_typeIjLj3EESC_SC_SC_SC_, .Lfunc_end16-_ZL16k_set_rows_quantIi10block_q8_0Li32ETnPFvPKfPT0_EXadL_ZL23quantize_f32_q8_0_blockS2_PS0_EEEvS2_PKT_S4_llllllllllllll15HIP_vector_typeIjLj3EESC_SC_SC_SC_
                                        ; -- End function
	.set _ZL16k_set_rows_quantIi10block_q8_0Li32ETnPFvPKfPT0_EXadL_ZL23quantize_f32_q8_0_blockS2_PS0_EEEvS2_PKT_S4_llllllllllllll15HIP_vector_typeIjLj3EESC_SC_SC_SC_.num_vgpr, 46
	.set _ZL16k_set_rows_quantIi10block_q8_0Li32ETnPFvPKfPT0_EXadL_ZL23quantize_f32_q8_0_blockS2_PS0_EEEvS2_PKT_S4_llllllllllllll15HIP_vector_typeIjLj3EESC_SC_SC_SC_.num_agpr, 0
	.set _ZL16k_set_rows_quantIi10block_q8_0Li32ETnPFvPKfPT0_EXadL_ZL23quantize_f32_q8_0_blockS2_PS0_EEEvS2_PKT_S4_llllllllllllll15HIP_vector_typeIjLj3EESC_SC_SC_SC_.numbered_sgpr, 40
	.set _ZL16k_set_rows_quantIi10block_q8_0Li32ETnPFvPKfPT0_EXadL_ZL23quantize_f32_q8_0_blockS2_PS0_EEEvS2_PKT_S4_llllllllllllll15HIP_vector_typeIjLj3EESC_SC_SC_SC_.num_named_barrier, 0
	.set _ZL16k_set_rows_quantIi10block_q8_0Li32ETnPFvPKfPT0_EXadL_ZL23quantize_f32_q8_0_blockS2_PS0_EEEvS2_PKT_S4_llllllllllllll15HIP_vector_typeIjLj3EESC_SC_SC_SC_.private_seg_size, 0
	.set _ZL16k_set_rows_quantIi10block_q8_0Li32ETnPFvPKfPT0_EXadL_ZL23quantize_f32_q8_0_blockS2_PS0_EEEvS2_PKT_S4_llllllllllllll15HIP_vector_typeIjLj3EESC_SC_SC_SC_.uses_vcc, 1
	.set _ZL16k_set_rows_quantIi10block_q8_0Li32ETnPFvPKfPT0_EXadL_ZL23quantize_f32_q8_0_blockS2_PS0_EEEvS2_PKT_S4_llllllllllllll15HIP_vector_typeIjLj3EESC_SC_SC_SC_.uses_flat_scratch, 0
	.set _ZL16k_set_rows_quantIi10block_q8_0Li32ETnPFvPKfPT0_EXadL_ZL23quantize_f32_q8_0_blockS2_PS0_EEEvS2_PKT_S4_llllllllllllll15HIP_vector_typeIjLj3EESC_SC_SC_SC_.has_dyn_sized_stack, 0
	.set _ZL16k_set_rows_quantIi10block_q8_0Li32ETnPFvPKfPT0_EXadL_ZL23quantize_f32_q8_0_blockS2_PS0_EEEvS2_PKT_S4_llllllllllllll15HIP_vector_typeIjLj3EESC_SC_SC_SC_.has_recursion, 0
	.set _ZL16k_set_rows_quantIi10block_q8_0Li32ETnPFvPKfPT0_EXadL_ZL23quantize_f32_q8_0_blockS2_PS0_EEEvS2_PKT_S4_llllllllllllll15HIP_vector_typeIjLj3EESC_SC_SC_SC_.has_indirect_call, 0
	.section	.AMDGPU.csdata,"",@progbits
; Kernel info:
; codeLenInByte = 2828
; TotalNumSgprs: 46
; NumVgprs: 46
; NumAgprs: 0
; TotalNumVgprs: 46
; ScratchSize: 0
; MemoryBound: 0
; FloatMode: 240
; IeeeMode: 1
; LDSByteSize: 0 bytes/workgroup (compile time only)
; SGPRBlocks: 5
; VGPRBlocks: 5
; NumSGPRsForWavesPerEU: 46
; NumVGPRsForWavesPerEU: 46
; AccumOffset: 48
; Occupancy: 8
; WaveLimiterHint : 1
; COMPUTE_PGM_RSRC2:SCRATCH_EN: 0
; COMPUTE_PGM_RSRC2:USER_SGPR: 2
; COMPUTE_PGM_RSRC2:TRAP_HANDLER: 0
; COMPUTE_PGM_RSRC2:TGID_X_EN: 1
; COMPUTE_PGM_RSRC2:TGID_Y_EN: 0
; COMPUTE_PGM_RSRC2:TGID_Z_EN: 0
; COMPUTE_PGM_RSRC2:TIDIG_COMP_CNT: 0
; COMPUTE_PGM_RSRC3_GFX90A:ACCUM_OFFSET: 11
; COMPUTE_PGM_RSRC3_GFX90A:TG_SPLIT: 0
	.section	.text._ZL16k_set_rows_quantIi12block_iq4_nlLi32ETnPFvPKfPT0_EXadL_ZL25quantize_f32_iq4_nl_blockS2_PS0_EEEvS2_PKT_S4_llllllllllllll15HIP_vector_typeIjLj3EESC_SC_SC_SC_,"axG",@progbits,_ZL16k_set_rows_quantIi12block_iq4_nlLi32ETnPFvPKfPT0_EXadL_ZL25quantize_f32_iq4_nl_blockS2_PS0_EEEvS2_PKT_S4_llllllllllllll15HIP_vector_typeIjLj3EESC_SC_SC_SC_,comdat
	.globl	_ZL16k_set_rows_quantIi12block_iq4_nlLi32ETnPFvPKfPT0_EXadL_ZL25quantize_f32_iq4_nl_blockS2_PS0_EEEvS2_PKT_S4_llllllllllllll15HIP_vector_typeIjLj3EESC_SC_SC_SC_ ; -- Begin function _ZL16k_set_rows_quantIi12block_iq4_nlLi32ETnPFvPKfPT0_EXadL_ZL25quantize_f32_iq4_nl_blockS2_PS0_EEEvS2_PKT_S4_llllllllllllll15HIP_vector_typeIjLj3EESC_SC_SC_SC_
	.p2align	8
	.type	_ZL16k_set_rows_quantIi12block_iq4_nlLi32ETnPFvPKfPT0_EXadL_ZL25quantize_f32_iq4_nl_blockS2_PS0_EEEvS2_PKT_S4_llllllllllllll15HIP_vector_typeIjLj3EESC_SC_SC_SC_,@function
_ZL16k_set_rows_quantIi12block_iq4_nlLi32ETnPFvPKfPT0_EXadL_ZL25quantize_f32_iq4_nl_blockS2_PS0_EEEvS2_PKT_S4_llllllllllllll15HIP_vector_typeIjLj3EESC_SC_SC_SC_: ; @_ZL16k_set_rows_quantIi12block_iq4_nlLi32ETnPFvPKfPT0_EXadL_ZL25quantize_f32_iq4_nl_blockS2_PS0_EEEvS2_PKT_S4_llllllllllllll15HIP_vector_typeIjLj3EESC_SC_SC_SC_
; %bb.0:
	s_load_dword s3, s[0:1], 0xd4
	s_load_dwordx2 s[4:5], s[0:1], 0x18
	v_mov_b32_e32 v4, 0
	v_mov_b32_e32 v1, v4
	;; [unrolled: 1-line block ×3, first 2 shown]
	s_waitcnt lgkmcnt(0)
	s_and_b32 s3, s3, 0xffff
	v_mad_u64_u32 v[0:1], s[2:3], s3, v2, v[0:1]
	v_cmp_gt_i64_e32 vcc, s[4:5], v[0:1]
	s_and_saveexec_b64 s[2:3], vcc
	s_cbranch_execz .LBB17_16
; %bb.1:
	s_load_dwordx4 s[28:31], s[0:1], 0x0
	s_load_dwordx2 s[2:3], s[0:1], 0x10
	s_load_dwordx16 s[4:19], s[0:1], 0x40
	s_load_dwordx8 s[20:27], s[0:1], 0x88
	s_load_dword s33, s[0:1], 0xc0
	s_load_dwordx2 s[34:35], s[0:1], 0xb8
	s_load_dwordx4 s[36:39], s[0:1], 0xa8
	v_lshlrev_b32_e32 v5, 5, v0
	s_waitcnt lgkmcnt(0)
	v_mul_hi_u32 v0, s20, v5
	v_add_u32_e32 v0, v5, v0
	v_lshrrev_b32_e32 v8, s21, v0
	v_mul_hi_u32 v0, v8, s23
	v_add_u32_e32 v0, v8, v0
	v_lshrrev_b32_e32 v0, s24, v0
	v_mul_lo_u32 v1, v0, s25
	v_sub_u32_e32 v10, v8, v1
	v_mul_hi_u32 v1, v0, s26
	v_add_u32_e32 v1, v0, v1
	v_lshrrev_b32_e32 v40, s27, v1
	v_mul_lo_u32 v1, v40, s36
	v_sub_u32_e32 v42, v0, v1
	;; [unrolled: 5-line block ×4, first 2 shown]
	v_mad_u64_u32 v[0:1], s[20:21], s10, v10, 0
	v_mov_b32_e32 v2, v1
	v_mad_u64_u32 v[2:3], s[10:11], s11, v10, v[2:3]
	v_mov_b32_e32 v1, v2
	;; [unrolled: 2-line block ×3, first 2 shown]
	v_mad_u64_u32 v[6:7], s[10:11], s13, v7, v[6:7]
	v_lshl_add_u64 v[0:1], v[0:1], 2, s[30:31]
	v_mov_b32_e32 v3, v6
	v_lshl_add_u64 v[0:1], v[2:3], 2, v[0:1]
	v_mad_u64_u32 v[2:3], s[10:11], s14, v9, 0
	v_mov_b32_e32 v6, v3
	v_mad_u64_u32 v[6:7], s[10:11], s15, v9, v[6:7]
	v_mov_b32_e32 v3, v6
	v_lshl_add_u64 v[0:1], v[2:3], 2, v[0:1]
	global_load_dword v38, v[0:1], off
	v_mul_lo_u32 v0, v8, s22
	v_sub_u32_e32 v8, v5, v0
	v_mad_u64_u32 v[0:1], s[10:11], s4, v10, 0
	v_mov_b32_e32 v2, v1
	v_mad_u64_u32 v[2:3], s[4:5], s5, v10, v[2:3]
	v_mov_b32_e32 v1, v2
	;; [unrolled: 2-line block ×3, first 2 shown]
	v_mad_u64_u32 v[6:7], s[4:5], s7, v42, v[6:7]
	v_lshl_add_u64 v[0:1], v[0:1], 2, s[28:29]
	v_mov_b32_e32 v3, v6
	v_lshl_add_u64 v[0:1], v[2:3], 2, v[0:1]
	v_mad_u64_u32 v[2:3], s[4:5], s8, v40, 0
	v_mov_b32_e32 v6, v3
	v_mad_u64_u32 v[6:7], s[4:5], s9, v40, v[6:7]
	v_mov_b32_e32 v3, v6
	v_mov_b32_e32 v9, v4
	v_lshl_add_u64 v[0:1], v[2:3], 2, v[0:1]
	v_lshl_add_u64 v[6:7], v[8:9], 2, v[0:1]
	global_load_dwordx4 v[10:13], v[6:7], off
	global_load_dwordx4 v[14:17], v[6:7], off offset:16
	global_load_dwordx4 v[18:21], v[6:7], off offset:32
	;; [unrolled: 1-line block ×7, first 2 shown]
	s_load_dwordx2 s[4:5], s[0:1], 0x80
	v_mov_b32_e32 v39, v4
	s_mov_b32 s0, 0x8e38e38f
	v_mov_b32_e32 v41, v4
	s_mov_b32 s8, 0xe38e38e3
	;; [unrolled: 2-line block ×3, first 2 shown]
	s_mov_b32 s1, 0
	s_mov_b32 s11, 0x42e20000
	s_waitcnt vmcnt(8)
	v_ashrrev_i32_e32 v5, 31, v38
	v_mul_lo_u32 v9, s17, v38
	v_mad_u64_u32 v[44:45], s[6:7], s16, v38, 0
	v_mul_lo_u32 v5, s16, v5
	v_add3_u32 v45, v45, v5, v9
	s_waitcnt lgkmcnt(0)
	v_mad_u64_u32 v[44:45], s[6:7], s4, v40, v[44:45]
	v_mov_b32_e32 v38, v45
	v_mad_u64_u32 v[46:47], s[4:5], s5, v40, v[38:39]
	v_mov_b32_e32 v45, v46
	;; [unrolled: 2-line block ×3, first 2 shown]
	v_mul_hi_u32 v38, v44, s0
	v_mad_u64_u32 v[46:47], s[4:5], s19, v42, v[40:41]
	v_mad_u64_u32 v[38:39], s[4:5], v46, s0, v[38:39]
	v_mov_b32_e32 v40, v39
	v_mov_b32_e32 v39, v4
	v_mad_u64_u32 v[38:39], s[4:5], v44, s8, v[38:39]
	v_mov_b32_e32 v42, v39
	v_lshl_add_u64 v[38:39], v[40:41], 0, v[42:43]
	v_mad_u64_u32 v[38:39], s[4:5], v46, s8, v[38:39]
	v_alignbit_b32 v5, v39, v38, 4
	s_waitcnt vmcnt(7)
	v_cmp_lg_f32_e32 vcc, 0, v10
	v_lshrrev_b32_e32 v9, 4, v39
	v_mad_u64_u32 v[38:39], s[2:3], v5, 18, s[2:3]
	v_cndmask_b32_e32 v5, 0, v10, vcc
	v_cndmask_b32_e64 v10, 0, |v10|, vcc
	v_cmp_lt_f32_e64 vcc, v10, |v11|
	v_mov_b32_e32 v40, v39
	s_mov_b32 s0, s1
	v_cndmask_b32_e64 v10, v10, |v11|, vcc
	v_cndmask_b32_e32 v5, v5, v11, vcc
	v_cmp_lt_f32_e64 vcc, v10, |v12|
	s_nop 1
	v_cndmask_b32_e64 v10, v10, |v12|, vcc
	v_cndmask_b32_e32 v5, v5, v12, vcc
	v_cmp_lt_f32_e64 vcc, v10, |v13|
	s_nop 1
	v_cndmask_b32_e64 v10, v10, |v13|, vcc
	v_cndmask_b32_e32 v5, v5, v13, vcc
	s_waitcnt vmcnt(6)
	v_cmp_lt_f32_e64 vcc, v10, |v14|
	s_nop 1
	v_cndmask_b32_e64 v10, v10, |v14|, vcc
	v_cndmask_b32_e32 v5, v5, v14, vcc
	v_cmp_lt_f32_e64 vcc, v10, |v15|
	s_nop 1
	v_cndmask_b32_e64 v10, v10, |v15|, vcc
	v_cndmask_b32_e32 v5, v5, v15, vcc
	v_cmp_lt_f32_e64 vcc, v10, |v16|
	s_nop 1
	v_cndmask_b32_e64 v10, v10, |v16|, vcc
	v_cndmask_b32_e32 v5, v5, v16, vcc
	v_cmp_lt_f32_e64 vcc, v10, |v17|
	s_nop 1
	v_cndmask_b32_e64 v10, v10, |v17|, vcc
	v_cndmask_b32_e32 v5, v5, v17, vcc
	s_waitcnt vmcnt(5)
	v_cmp_lt_f32_e64 vcc, v10, |v18|
	s_nop 1
	v_cndmask_b32_e64 v10, v10, |v18|, vcc
	v_cndmask_b32_e32 v5, v5, v18, vcc
	v_cmp_lt_f32_e64 vcc, v10, |v19|
	s_nop 1
	v_cndmask_b32_e64 v10, v10, |v19|, vcc
	v_cndmask_b32_e32 v5, v5, v19, vcc
	;; [unrolled: 4-line block ×4, first 2 shown]
	s_waitcnt vmcnt(4)
	v_cmp_lt_f32_e64 vcc, v10, |v0|
	s_nop 1
	v_cndmask_b32_e32 v5, v5, v0, vcc
	v_cndmask_b32_e64 v0, v10, |v0|, vcc
	v_cmp_lt_f32_e64 vcc, v0, |v1|
	s_nop 1
	v_cndmask_b32_e64 v0, v0, |v1|, vcc
	v_cndmask_b32_e32 v5, v5, v1, vcc
	v_cmp_lt_f32_e64 vcc, v0, |v2|
	s_nop 1
	v_cndmask_b32_e64 v0, v0, |v2|, vcc
	v_cndmask_b32_e32 v1, v5, v2, vcc
	;; [unrolled: 4-line block ×3, first 2 shown]
	s_waitcnt vmcnt(0)
	v_cmp_lt_f32_e64 vcc, v0, |v34|
	s_nop 1
	v_cndmask_b32_e64 v0, v0, |v34|, vcc
	v_cndmask_b32_e32 v1, v1, v34, vcc
	v_cmp_lt_f32_e64 vcc, v0, |v35|
	s_nop 1
	v_cndmask_b32_e64 v0, v0, |v35|, vcc
	v_cndmask_b32_e32 v1, v1, v35, vcc
	;; [unrolled: 4-line block ×15, first 2 shown]
	v_cmp_lt_f32_e64 vcc, v0, |v25|
	s_nop 1
	v_cndmask_b32_e32 v2, v1, v25, vcc
	v_div_scale_f32 v3, s[2:3], s10, s10, v2
	v_rcp_f32_e32 v5, v3
	v_mad_u64_u32 v[0:1], s[2:3], v9, 18, v[40:41]
	v_mov_b32_e32 v39, v0
	v_fma_f32 v0, -v3, v5, 1.0
	v_fmac_f32_e32 v5, v0, v5
	v_div_scale_f32 v0, vcc, v2, s10, v2
	v_mul_f32_e32 v1, v0, v5
	v_fma_f32 v9, -v3, v1, v0
	v_fmac_f32_e32 v1, v9, v5
	v_fma_f32 v0, -v3, v1, v0
	v_div_fmas_f32 v0, v0, v5, v1
	v_div_fixup_f32 v12, v0, s10, v2
	v_div_scale_f32 v2, s[2:3], v12, v12, 1.0
	v_rcp_f32_e32 v3, v2
	v_lshrrev_b32_e32 v0, 5, v8
	v_mad_u64_u32 v[0:1], s[2:3], v0, 18, v[38:39]
	v_fma_f32 v5, -v2, v3, 1.0
	v_fmac_f32_e32 v3, v5, v3
	v_div_scale_f32 v5, vcc, 1.0, v12, 1.0
	v_mul_f32_e32 v8, v5, v3
	v_fma_f32 v9, -v2, v8, v5
	v_fmac_f32_e32 v8, v9, v3
	v_fma_f32 v2, -v2, v8, v5
	v_div_fmas_f32 v2, v2, v3, v8
	v_div_fixup_f32 v2, v2, v12, 1.0
	v_cmp_neq_f32_e32 vcc, 0, v12
	v_mov_b32_e32 v5, v4
	s_nop 0
	v_cndmask_b32_e32 v13, 0, v2, vcc
	s_branch .LBB17_4
.LBB17_2:                               ;   in Loop: Header=BB17_4 Depth=1
	s_or_b64 exec, exec, s[4:5]
.LBB17_3:                               ;   in Loop: Header=BB17_4 Depth=1
	s_or_b64 exec, exec, s[2:3]
	s_getpc_b64 s[2:3]
	s_add_u32 s2, s2, _ZL13kvalues_iq4nl@rel32@lo+4
	s_addc_u32 s3, s3, _ZL13kvalues_iq4nl@rel32@hi+12
	v_and_b32_e32 v9, 0xff, v14
	v_and_b32_e32 v8, 0xff, v15
	global_load_sbyte v16, v9, s[2:3]
	global_load_sbyte v17, v8, s[2:3]
	v_lshl_or_b32 v18, v14, 4, v15
	v_lshl_add_u64 v[8:9], v[0:1], 0, s[0:1]
	v_pk_mul_f32 v[10:11], v[2:3], v[2:3]
	global_store_byte v[8:9], v18, off offset:2
	s_add_i32 s0, s0, 1
	s_cmp_lg_u32 s0, 16
	s_waitcnt vmcnt(2)
	v_cvt_f32_i32_e32 v15, v16
	s_waitcnt vmcnt(1)
	v_cvt_f32_i32_e32 v14, v17
	v_mov_b32_e32 v17, v3
	v_pk_mul_f32 v[8:9], v[10:11], v[14:15]
	v_pk_mov_b32 v[2:3], v[14:15], v[2:3] op_sel:[1,0]
	v_mov_b32_e32 v16, v14
	v_pk_mul_f32 v[2:3], v[2:3], v[8:9] op_sel:[0,1] op_sel_hi:[1,0]
	s_nop 0
	v_pk_fma_f32 v[2:3], v[16:17], v[8:9], v[2:3]
	s_nop 0
	v_pk_add_f32 v[4:5], v[4:5], v[2:3]
	s_cbranch_scc0 .LBB17_15
.LBB17_4:                               ; =>This Loop Header: Depth=1
                                        ;     Child Loop BB17_7 Depth 2
                                        ;     Child Loop BB17_13 Depth 2
	v_lshl_add_u64 v[8:9], s[0:1], 2, v[6:7]
	global_load_dword v2, v[8:9], off
	global_load_dword v3, v[8:9], off offset:64
	v_mov_b32_e32 v14, 0
	v_mov_b32_e32 v15, 0
	s_waitcnt vmcnt(1)
	v_mul_f32_e32 v8, v13, v2
	v_cmp_nge_f32_e32 vcc, s10, v8
	s_and_saveexec_b64 s[2:3], vcc
	s_cbranch_execz .LBB17_10
; %bb.5:                                ;   in Loop: Header=BB17_4 Depth=1
	v_cmp_nle_f32_e32 vcc, s11, v8
	v_mov_b32_e32 v15, 15
	s_and_saveexec_b64 s[4:5], vcc
	s_cbranch_execz .LBB17_9
; %bb.6:                                ;   in Loop: Header=BB17_4 Depth=1
	v_mov_b32_e32 v9, 0
	v_mov_b32_e32 v10, 15
	s_mov_b64 s[6:7], 0
.LBB17_7:                               ;   Parent Loop BB17_4 Depth=1
                                        ; =>  This Inner Loop Header: Depth=2
	v_add_u32_e32 v11, v9, v10
	v_lshrrev_b32_e32 v15, 31, v11
	v_add_u32_e32 v11, v11, v15
	v_ashrrev_i32_e32 v16, 1, v11
	s_getpc_b64 s[8:9]
	s_add_u32 s8, s8, _ZL13kvalues_iq4nl@rel32@lo+4
	s_addc_u32 s9, s9, _ZL13kvalues_iq4nl@rel32@hi+12
	v_ashrrev_i32_e32 v17, 31, v16
	v_lshl_add_u64 v[18:19], s[8:9], 0, v[16:17]
	global_load_sbyte v11, v[18:19], off
	s_waitcnt vmcnt(0)
	v_cvt_f32_i32_e32 v11, v11
	v_cmp_lt_f32_e32 vcc, v8, v11
	s_nop 1
	v_cndmask_b32_e32 v9, v16, v9, vcc
	v_cndmask_b32_e32 v10, v10, v16, vcc
	v_sub_u32_e32 v11, v10, v9
	v_cmp_gt_i32_e32 vcc, 2, v11
	s_or_b64 s[6:7], vcc, s[6:7]
	s_andn2_b64 exec, exec, s[6:7]
	s_cbranch_execnz .LBB17_7
; %bb.8:                                ;   in Loop: Header=BB17_4 Depth=1
	s_or_b64 exec, exec, s[6:7]
	v_add_u32_e32 v16, -1, v10
	v_ashrrev_i32_e32 v17, 31, v16
	v_lshl_add_u64 v[18:19], s[8:9], 0, v[16:17]
	v_ashrrev_i32_e32 v11, 31, v10
	v_lshl_add_u64 v[20:21], s[8:9], 0, v[10:11]
	global_load_sbyte v9, v[18:19], off
	global_load_sbyte v11, v[20:21], off
	v_mov_b32_e32 v19, v8
	s_waitcnt vmcnt(1)
	v_cvt_f32_i32_e32 v18, v9
	s_waitcnt vmcnt(0)
	v_cvt_f32_i32_e32 v9, v11
	v_pk_add_f32 v[8:9], v[8:9], v[18:19] neg_lo:[0,1] neg_hi:[0,1]
	s_nop 0
	v_cmp_lt_f32_e32 vcc, v8, v9
	s_nop 1
	v_cndmask_b32_e32 v15, v10, v16, vcc
.LBB17_9:                               ;   in Loop: Header=BB17_4 Depth=1
	s_or_b64 exec, exec, s[4:5]
.LBB17_10:                              ;   in Loop: Header=BB17_4 Depth=1
	s_or_b64 exec, exec, s[2:3]
	s_waitcnt vmcnt(0)
	v_mul_f32_e32 v8, v13, v3
	v_cmp_nge_f32_e32 vcc, s10, v8
	s_and_saveexec_b64 s[2:3], vcc
	s_cbranch_execz .LBB17_3
; %bb.11:                               ;   in Loop: Header=BB17_4 Depth=1
	v_cmp_nle_f32_e32 vcc, s11, v8
	v_mov_b32_e32 v14, 15
	s_and_saveexec_b64 s[4:5], vcc
	s_cbranch_execz .LBB17_2
; %bb.12:                               ;   in Loop: Header=BB17_4 Depth=1
	v_mov_b32_e32 v9, 0
	v_mov_b32_e32 v10, 15
	s_mov_b64 s[6:7], 0
.LBB17_13:                              ;   Parent Loop BB17_4 Depth=1
                                        ; =>  This Inner Loop Header: Depth=2
	v_add_u32_e32 v11, v9, v10
	v_lshrrev_b32_e32 v14, 31, v11
	v_add_u32_e32 v11, v11, v14
	v_ashrrev_i32_e32 v16, 1, v11
	s_getpc_b64 s[8:9]
	s_add_u32 s8, s8, _ZL13kvalues_iq4nl@rel32@lo+4
	s_addc_u32 s9, s9, _ZL13kvalues_iq4nl@rel32@hi+12
	v_ashrrev_i32_e32 v17, 31, v16
	v_lshl_add_u64 v[18:19], s[8:9], 0, v[16:17]
	global_load_sbyte v11, v[18:19], off
	s_waitcnt vmcnt(0)
	v_cvt_f32_i32_e32 v11, v11
	v_cmp_lt_f32_e32 vcc, v8, v11
	s_nop 1
	v_cndmask_b32_e32 v9, v16, v9, vcc
	v_cndmask_b32_e32 v10, v10, v16, vcc
	v_sub_u32_e32 v11, v10, v9
	v_cmp_gt_i32_e32 vcc, 2, v11
	s_or_b64 s[6:7], vcc, s[6:7]
	s_andn2_b64 exec, exec, s[6:7]
	s_cbranch_execnz .LBB17_13
; %bb.14:                               ;   in Loop: Header=BB17_4 Depth=1
	s_or_b64 exec, exec, s[6:7]
	v_add_u32_e32 v16, -1, v10
	v_ashrrev_i32_e32 v17, 31, v16
	v_lshl_add_u64 v[18:19], s[8:9], 0, v[16:17]
	v_ashrrev_i32_e32 v11, 31, v10
	v_lshl_add_u64 v[20:21], s[8:9], 0, v[10:11]
	global_load_sbyte v9, v[18:19], off
	global_load_sbyte v11, v[20:21], off
	v_mov_b32_e32 v19, v8
	s_waitcnt vmcnt(1)
	v_cvt_f32_i32_e32 v18, v9
	s_waitcnt vmcnt(0)
	v_cvt_f32_i32_e32 v9, v11
	v_pk_add_f32 v[8:9], v[8:9], v[18:19] neg_lo:[0,1] neg_hi:[0,1]
	s_nop 0
	v_cmp_lt_f32_e32 vcc, v8, v9
	s_nop 1
	v_cndmask_b32_e32 v14, v10, v16, vcc
	s_branch .LBB17_2
.LBB17_15:
	v_div_scale_f32 v2, s[0:1], v4, v4, v5
	v_rcp_f32_e32 v3, v2
	v_div_scale_f32 v6, vcc, v5, v4, v5
	v_fma_f32 v7, -v2, v3, 1.0
	v_fmac_f32_e32 v3, v7, v3
	v_mul_f32_e32 v7, v6, v3
	v_fma_f32 v8, -v2, v7, v6
	v_fmac_f32_e32 v7, v8, v3
	v_fma_f32 v2, -v2, v7, v6
	v_div_fmas_f32 v2, v2, v3, v7
	v_div_fixup_f32 v2, v2, v4, v5
	v_cmp_lt_f32_e32 vcc, 0, v4
	s_nop 1
	v_cndmask_b32_e32 v2, v12, v2, vcc
	v_cvt_f16_f32_e32 v2, v2
	global_store_short v[0:1], v2, off
.LBB17_16:
	s_endpgm
	.section	.rodata,"a",@progbits
	.p2align	6, 0x0
	.amdhsa_kernel _ZL16k_set_rows_quantIi12block_iq4_nlLi32ETnPFvPKfPT0_EXadL_ZL25quantize_f32_iq4_nl_blockS2_PS0_EEEvS2_PKT_S4_llllllllllllll15HIP_vector_typeIjLj3EESC_SC_SC_SC_
		.amdhsa_group_segment_fixed_size 0
		.amdhsa_private_segment_fixed_size 0
		.amdhsa_kernarg_size 456
		.amdhsa_user_sgpr_count 2
		.amdhsa_user_sgpr_dispatch_ptr 0
		.amdhsa_user_sgpr_queue_ptr 0
		.amdhsa_user_sgpr_kernarg_segment_ptr 1
		.amdhsa_user_sgpr_dispatch_id 0
		.amdhsa_user_sgpr_kernarg_preload_length 0
		.amdhsa_user_sgpr_kernarg_preload_offset 0
		.amdhsa_user_sgpr_private_segment_size 0
		.amdhsa_uses_dynamic_stack 0
		.amdhsa_enable_private_segment 0
		.amdhsa_system_sgpr_workgroup_id_x 1
		.amdhsa_system_sgpr_workgroup_id_y 0
		.amdhsa_system_sgpr_workgroup_id_z 0
		.amdhsa_system_sgpr_workgroup_info 0
		.amdhsa_system_vgpr_workitem_id 0
		.amdhsa_next_free_vgpr 48
		.amdhsa_next_free_sgpr 40
		.amdhsa_accum_offset 48
		.amdhsa_reserve_vcc 1
		.amdhsa_float_round_mode_32 0
		.amdhsa_float_round_mode_16_64 0
		.amdhsa_float_denorm_mode_32 3
		.amdhsa_float_denorm_mode_16_64 3
		.amdhsa_dx10_clamp 1
		.amdhsa_ieee_mode 1
		.amdhsa_fp16_overflow 0
		.amdhsa_tg_split 0
		.amdhsa_exception_fp_ieee_invalid_op 0
		.amdhsa_exception_fp_denorm_src 0
		.amdhsa_exception_fp_ieee_div_zero 0
		.amdhsa_exception_fp_ieee_overflow 0
		.amdhsa_exception_fp_ieee_underflow 0
		.amdhsa_exception_fp_ieee_inexact 0
		.amdhsa_exception_int_div_zero 0
	.end_amdhsa_kernel
	.section	.text._ZL16k_set_rows_quantIi12block_iq4_nlLi32ETnPFvPKfPT0_EXadL_ZL25quantize_f32_iq4_nl_blockS2_PS0_EEEvS2_PKT_S4_llllllllllllll15HIP_vector_typeIjLj3EESC_SC_SC_SC_,"axG",@progbits,_ZL16k_set_rows_quantIi12block_iq4_nlLi32ETnPFvPKfPT0_EXadL_ZL25quantize_f32_iq4_nl_blockS2_PS0_EEEvS2_PKT_S4_llllllllllllll15HIP_vector_typeIjLj3EESC_SC_SC_SC_,comdat
.Lfunc_end17:
	.size	_ZL16k_set_rows_quantIi12block_iq4_nlLi32ETnPFvPKfPT0_EXadL_ZL25quantize_f32_iq4_nl_blockS2_PS0_EEEvS2_PKT_S4_llllllllllllll15HIP_vector_typeIjLj3EESC_SC_SC_SC_, .Lfunc_end17-_ZL16k_set_rows_quantIi12block_iq4_nlLi32ETnPFvPKfPT0_EXadL_ZL25quantize_f32_iq4_nl_blockS2_PS0_EEEvS2_PKT_S4_llllllllllllll15HIP_vector_typeIjLj3EESC_SC_SC_SC_
                                        ; -- End function
	.set _ZL16k_set_rows_quantIi12block_iq4_nlLi32ETnPFvPKfPT0_EXadL_ZL25quantize_f32_iq4_nl_blockS2_PS0_EEEvS2_PKT_S4_llllllllllllll15HIP_vector_typeIjLj3EESC_SC_SC_SC_.num_vgpr, 48
	.set _ZL16k_set_rows_quantIi12block_iq4_nlLi32ETnPFvPKfPT0_EXadL_ZL25quantize_f32_iq4_nl_blockS2_PS0_EEEvS2_PKT_S4_llllllllllllll15HIP_vector_typeIjLj3EESC_SC_SC_SC_.num_agpr, 0
	.set _ZL16k_set_rows_quantIi12block_iq4_nlLi32ETnPFvPKfPT0_EXadL_ZL25quantize_f32_iq4_nl_blockS2_PS0_EEEvS2_PKT_S4_llllllllllllll15HIP_vector_typeIjLj3EESC_SC_SC_SC_.numbered_sgpr, 40
	.set _ZL16k_set_rows_quantIi12block_iq4_nlLi32ETnPFvPKfPT0_EXadL_ZL25quantize_f32_iq4_nl_blockS2_PS0_EEEvS2_PKT_S4_llllllllllllll15HIP_vector_typeIjLj3EESC_SC_SC_SC_.num_named_barrier, 0
	.set _ZL16k_set_rows_quantIi12block_iq4_nlLi32ETnPFvPKfPT0_EXadL_ZL25quantize_f32_iq4_nl_blockS2_PS0_EEEvS2_PKT_S4_llllllllllllll15HIP_vector_typeIjLj3EESC_SC_SC_SC_.private_seg_size, 0
	.set _ZL16k_set_rows_quantIi12block_iq4_nlLi32ETnPFvPKfPT0_EXadL_ZL25quantize_f32_iq4_nl_blockS2_PS0_EEEvS2_PKT_S4_llllllllllllll15HIP_vector_typeIjLj3EESC_SC_SC_SC_.uses_vcc, 1
	.set _ZL16k_set_rows_quantIi12block_iq4_nlLi32ETnPFvPKfPT0_EXadL_ZL25quantize_f32_iq4_nl_blockS2_PS0_EEEvS2_PKT_S4_llllllllllllll15HIP_vector_typeIjLj3EESC_SC_SC_SC_.uses_flat_scratch, 0
	.set _ZL16k_set_rows_quantIi12block_iq4_nlLi32ETnPFvPKfPT0_EXadL_ZL25quantize_f32_iq4_nl_blockS2_PS0_EEEvS2_PKT_S4_llllllllllllll15HIP_vector_typeIjLj3EESC_SC_SC_SC_.has_dyn_sized_stack, 0
	.set _ZL16k_set_rows_quantIi12block_iq4_nlLi32ETnPFvPKfPT0_EXadL_ZL25quantize_f32_iq4_nl_blockS2_PS0_EEEvS2_PKT_S4_llllllllllllll15HIP_vector_typeIjLj3EESC_SC_SC_SC_.has_recursion, 0
	.set _ZL16k_set_rows_quantIi12block_iq4_nlLi32ETnPFvPKfPT0_EXadL_ZL25quantize_f32_iq4_nl_blockS2_PS0_EEEvS2_PKT_S4_llllllllllllll15HIP_vector_typeIjLj3EESC_SC_SC_SC_.has_indirect_call, 0
	.section	.AMDGPU.csdata,"",@progbits
; Kernel info:
; codeLenInByte = 2520
; TotalNumSgprs: 46
; NumVgprs: 48
; NumAgprs: 0
; TotalNumVgprs: 48
; ScratchSize: 0
; MemoryBound: 0
; FloatMode: 240
; IeeeMode: 1
; LDSByteSize: 0 bytes/workgroup (compile time only)
; SGPRBlocks: 5
; VGPRBlocks: 5
; NumSGPRsForWavesPerEU: 46
; NumVGPRsForWavesPerEU: 48
; AccumOffset: 48
; Occupancy: 8
; WaveLimiterHint : 1
; COMPUTE_PGM_RSRC2:SCRATCH_EN: 0
; COMPUTE_PGM_RSRC2:USER_SGPR: 2
; COMPUTE_PGM_RSRC2:TRAP_HANDLER: 0
; COMPUTE_PGM_RSRC2:TGID_X_EN: 1
; COMPUTE_PGM_RSRC2:TGID_Y_EN: 0
; COMPUTE_PGM_RSRC2:TGID_Z_EN: 0
; COMPUTE_PGM_RSRC2:TIDIG_COMP_CNT: 0
; COMPUTE_PGM_RSRC3_GFX90A:ACCUM_OFFSET: 11
; COMPUTE_PGM_RSRC3_GFX90A:TG_SPLIT: 0
	.section	.AMDGPU.gpr_maximums,"",@progbits
	.set amdgpu.max_num_vgpr, 0
	.set amdgpu.max_num_agpr, 0
	.set amdgpu.max_num_sgpr, 0
	.section	.AMDGPU.csdata,"",@progbits
	.type	_ZL13kvalues_iq4nl,@object      ; @_ZL13kvalues_iq4nl
	.section	.rodata.cst16,"aM",@progbits,16
	.p2align	4, 0x0
_ZL13kvalues_iq4nl:
	.ascii	"\201\230\255\277\317\335\352\366\001\r\031&5EYq"
	.size	_ZL13kvalues_iq4nl, 16

	.type	__hip_cuid_edc5566daa53f17f,@object ; @__hip_cuid_edc5566daa53f17f
	.section	.bss,"aw",@nobits
	.globl	__hip_cuid_edc5566daa53f17f
__hip_cuid_edc5566daa53f17f:
	.byte	0                               ; 0x0
	.size	__hip_cuid_edc5566daa53f17f, 1

	.ident	"AMD clang version 22.0.0git (https://github.com/RadeonOpenCompute/llvm-project roc-7.2.4 26084 f58b06dce1f9c15707c5f808fd002e18c2accf7e)"
	.section	".note.GNU-stack","",@progbits
	.addrsig
	.addrsig_sym __hip_cuid_edc5566daa53f17f
	.amdgpu_metadata
---
amdhsa.kernels:
  - .agpr_count:     0
    .args:
      - .address_space:  global
        .offset:         0
        .size:           8
        .value_kind:     global_buffer
      - .address_space:  global
        .offset:         8
        .size:           8
        .value_kind:     global_buffer
      - .address_space:  global
        .offset:         16
        .size:           8
        .value_kind:     global_buffer
      - .offset:         24
        .size:           8
        .value_kind:     by_value
      - .offset:         32
        .size:           8
        .value_kind:     by_value
      - .offset:         40
        .size:           8
        .value_kind:     by_value
      - .offset:         48
        .size:           8
        .value_kind:     by_value
      - .offset:         56
        .size:           8
        .value_kind:     by_value
      - .offset:         64
        .size:           8
        .value_kind:     by_value
      - .offset:         72
        .size:           8
        .value_kind:     by_value
      - .offset:         80
        .size:           8
        .value_kind:     by_value
      - .offset:         88
        .size:           8
        .value_kind:     by_value
      - .offset:         96
        .size:           8
        .value_kind:     by_value
      - .offset:         104
        .size:           8
        .value_kind:     by_value
      - .offset:         112
        .size:           8
        .value_kind:     by_value
      - .offset:         120
        .size:           8
        .value_kind:     by_value
      - .offset:         128
        .size:           8
        .value_kind:     by_value
      - .offset:         136
        .size:           12
        .value_kind:     by_value
      - .offset:         148
        .size:           12
        .value_kind:     by_value
      - .offset:         160
        .size:           12
        .value_kind:     by_value
      - .offset:         172
        .size:           12
        .value_kind:     by_value
      - .offset:         184
        .size:           12
        .value_kind:     by_value
      - .offset:         200
        .size:           4
        .value_kind:     hidden_block_count_x
      - .offset:         204
        .size:           4
        .value_kind:     hidden_block_count_y
      - .offset:         208
        .size:           4
        .value_kind:     hidden_block_count_z
      - .offset:         212
        .size:           2
        .value_kind:     hidden_group_size_x
      - .offset:         214
        .size:           2
        .value_kind:     hidden_group_size_y
      - .offset:         216
        .size:           2
        .value_kind:     hidden_group_size_z
      - .offset:         218
        .size:           2
        .value_kind:     hidden_remainder_x
      - .offset:         220
        .size:           2
        .value_kind:     hidden_remainder_y
      - .offset:         222
        .size:           2
        .value_kind:     hidden_remainder_z
      - .offset:         240
        .size:           8
        .value_kind:     hidden_global_offset_x
      - .offset:         248
        .size:           8
        .value_kind:     hidden_global_offset_y
      - .offset:         256
        .size:           8
        .value_kind:     hidden_global_offset_z
      - .offset:         264
        .size:           2
        .value_kind:     hidden_grid_dims
    .group_segment_fixed_size: 0
    .kernarg_segment_align: 8
    .kernarg_segment_size: 456
    .language:       OpenCL C
    .language_version:
      - 2
      - 0
    .max_flat_workgroup_size: 1024
    .name:           _ZL10k_set_rowsIflfEvPKT_PKT0_PT1_llllllllllllll15HIP_vector_typeIjLj3EES9_S9_S9_S9_
    .private_segment_fixed_size: 0
    .sgpr_count:     46
    .sgpr_spill_count: 0
    .symbol:         _ZL10k_set_rowsIflfEvPKT_PKT0_PT1_llllllllllllll15HIP_vector_typeIjLj3EES9_S9_S9_S9_.kd
    .uniform_work_group_size: 1
    .uses_dynamic_stack: false
    .vgpr_count:     15
    .vgpr_spill_count: 0
    .wavefront_size: 64
  - .agpr_count:     0
    .args:
      - .address_space:  global
        .offset:         0
        .size:           8
        .value_kind:     global_buffer
      - .address_space:  global
        .offset:         8
        .size:           8
        .value_kind:     global_buffer
      - .address_space:  global
        .offset:         16
        .size:           8
        .value_kind:     global_buffer
      - .offset:         24
        .size:           8
        .value_kind:     by_value
      - .offset:         32
        .size:           8
        .value_kind:     by_value
      - .offset:         40
        .size:           8
        .value_kind:     by_value
      - .offset:         48
        .size:           8
        .value_kind:     by_value
      - .offset:         56
        .size:           8
        .value_kind:     by_value
      - .offset:         64
        .size:           8
        .value_kind:     by_value
      - .offset:         72
        .size:           8
        .value_kind:     by_value
      - .offset:         80
        .size:           8
        .value_kind:     by_value
      - .offset:         88
        .size:           8
        .value_kind:     by_value
      - .offset:         96
        .size:           8
        .value_kind:     by_value
      - .offset:         104
        .size:           8
        .value_kind:     by_value
      - .offset:         112
        .size:           8
        .value_kind:     by_value
      - .offset:         120
        .size:           8
        .value_kind:     by_value
      - .offset:         128
        .size:           8
        .value_kind:     by_value
      - .offset:         136
        .size:           12
        .value_kind:     by_value
      - .offset:         148
        .size:           12
        .value_kind:     by_value
      - .offset:         160
        .size:           12
        .value_kind:     by_value
      - .offset:         172
        .size:           12
        .value_kind:     by_value
      - .offset:         184
        .size:           12
        .value_kind:     by_value
      - .offset:         200
        .size:           4
        .value_kind:     hidden_block_count_x
      - .offset:         204
        .size:           4
        .value_kind:     hidden_block_count_y
      - .offset:         208
        .size:           4
        .value_kind:     hidden_block_count_z
      - .offset:         212
        .size:           2
        .value_kind:     hidden_group_size_x
      - .offset:         214
        .size:           2
        .value_kind:     hidden_group_size_y
      - .offset:         216
        .size:           2
        .value_kind:     hidden_group_size_z
      - .offset:         218
        .size:           2
        .value_kind:     hidden_remainder_x
      - .offset:         220
        .size:           2
        .value_kind:     hidden_remainder_y
      - .offset:         222
        .size:           2
        .value_kind:     hidden_remainder_z
      - .offset:         240
        .size:           8
        .value_kind:     hidden_global_offset_x
      - .offset:         248
        .size:           8
        .value_kind:     hidden_global_offset_y
      - .offset:         256
        .size:           8
        .value_kind:     hidden_global_offset_z
      - .offset:         264
        .size:           2
        .value_kind:     hidden_grid_dims
    .group_segment_fixed_size: 0
    .kernarg_segment_align: 8
    .kernarg_segment_size: 456
    .language:       OpenCL C
    .language_version:
      - 2
      - 0
    .max_flat_workgroup_size: 1024
    .name:           _ZL10k_set_rowsIfl6__halfEvPKT_PKT0_PT1_llllllllllllll15HIP_vector_typeIjLj3EESA_SA_SA_SA_
    .private_segment_fixed_size: 0
    .sgpr_count:     46
    .sgpr_spill_count: 0
    .symbol:         _ZL10k_set_rowsIfl6__halfEvPKT_PKT0_PT1_llllllllllllll15HIP_vector_typeIjLj3EESA_SA_SA_SA_.kd
    .uniform_work_group_size: 1
    .uses_dynamic_stack: false
    .vgpr_count:     15
    .vgpr_spill_count: 0
    .wavefront_size: 64
  - .agpr_count:     0
    .args:
      - .address_space:  global
        .offset:         0
        .size:           8
        .value_kind:     global_buffer
      - .address_space:  global
        .offset:         8
        .size:           8
        .value_kind:     global_buffer
      - .address_space:  global
        .offset:         16
        .size:           8
        .value_kind:     global_buffer
      - .offset:         24
        .size:           8
        .value_kind:     by_value
      - .offset:         32
        .size:           8
        .value_kind:     by_value
      - .offset:         40
        .size:           8
        .value_kind:     by_value
      - .offset:         48
        .size:           8
        .value_kind:     by_value
      - .offset:         56
        .size:           8
        .value_kind:     by_value
      - .offset:         64
        .size:           8
        .value_kind:     by_value
      - .offset:         72
        .size:           8
        .value_kind:     by_value
      - .offset:         80
        .size:           8
        .value_kind:     by_value
      - .offset:         88
        .size:           8
        .value_kind:     by_value
      - .offset:         96
        .size:           8
        .value_kind:     by_value
      - .offset:         104
        .size:           8
        .value_kind:     by_value
      - .offset:         112
        .size:           8
        .value_kind:     by_value
      - .offset:         120
        .size:           8
        .value_kind:     by_value
      - .offset:         128
        .size:           8
        .value_kind:     by_value
      - .offset:         136
        .size:           12
        .value_kind:     by_value
      - .offset:         148
        .size:           12
        .value_kind:     by_value
      - .offset:         160
        .size:           12
        .value_kind:     by_value
      - .offset:         172
        .size:           12
        .value_kind:     by_value
      - .offset:         184
        .size:           12
        .value_kind:     by_value
      - .offset:         200
        .size:           4
        .value_kind:     hidden_block_count_x
      - .offset:         204
        .size:           4
        .value_kind:     hidden_block_count_y
      - .offset:         208
        .size:           4
        .value_kind:     hidden_block_count_z
      - .offset:         212
        .size:           2
        .value_kind:     hidden_group_size_x
      - .offset:         214
        .size:           2
        .value_kind:     hidden_group_size_y
      - .offset:         216
        .size:           2
        .value_kind:     hidden_group_size_z
      - .offset:         218
        .size:           2
        .value_kind:     hidden_remainder_x
      - .offset:         220
        .size:           2
        .value_kind:     hidden_remainder_y
      - .offset:         222
        .size:           2
        .value_kind:     hidden_remainder_z
      - .offset:         240
        .size:           8
        .value_kind:     hidden_global_offset_x
      - .offset:         248
        .size:           8
        .value_kind:     hidden_global_offset_y
      - .offset:         256
        .size:           8
        .value_kind:     hidden_global_offset_z
      - .offset:         264
        .size:           2
        .value_kind:     hidden_grid_dims
    .group_segment_fixed_size: 0
    .kernarg_segment_align: 8
    .kernarg_segment_size: 456
    .language:       OpenCL C
    .language_version:
      - 2
      - 0
    .max_flat_workgroup_size: 1024
    .name:           _ZL10k_set_rowsIfl14__hip_bfloat16EvPKT_PKT0_PT1_llllllllllllll15HIP_vector_typeIjLj3EESA_SA_SA_SA_
    .private_segment_fixed_size: 0
    .sgpr_count:     46
    .sgpr_spill_count: 0
    .symbol:         _ZL10k_set_rowsIfl14__hip_bfloat16EvPKT_PKT0_PT1_llllllllllllll15HIP_vector_typeIjLj3EESA_SA_SA_SA_.kd
    .uniform_work_group_size: 1
    .uses_dynamic_stack: false
    .vgpr_count:     15
    .vgpr_spill_count: 0
    .wavefront_size: 64
  - .agpr_count:     0
    .args:
      - .actual_access:  read_only
        .address_space:  global
        .offset:         0
        .size:           8
        .value_kind:     global_buffer
      - .actual_access:  read_only
        .address_space:  global
        .offset:         8
        .size:           8
        .value_kind:     global_buffer
      - .actual_access:  write_only
        .address_space:  global
        .offset:         16
        .size:           8
        .value_kind:     global_buffer
      - .offset:         24
        .size:           8
        .value_kind:     by_value
      - .offset:         32
        .size:           8
        .value_kind:     by_value
      - .offset:         40
        .size:           8
        .value_kind:     by_value
      - .offset:         48
        .size:           8
        .value_kind:     by_value
      - .offset:         56
        .size:           8
        .value_kind:     by_value
      - .offset:         64
        .size:           8
        .value_kind:     by_value
      - .offset:         72
        .size:           8
        .value_kind:     by_value
      - .offset:         80
        .size:           8
        .value_kind:     by_value
      - .offset:         88
        .size:           8
        .value_kind:     by_value
      - .offset:         96
        .size:           8
        .value_kind:     by_value
      - .offset:         104
        .size:           8
        .value_kind:     by_value
      - .offset:         112
        .size:           8
        .value_kind:     by_value
      - .offset:         120
        .size:           8
        .value_kind:     by_value
      - .offset:         128
        .size:           8
        .value_kind:     by_value
      - .offset:         136
        .size:           12
        .value_kind:     by_value
      - .offset:         148
        .size:           12
        .value_kind:     by_value
      - .offset:         160
        .size:           12
        .value_kind:     by_value
      - .offset:         172
        .size:           12
        .value_kind:     by_value
      - .offset:         184
        .size:           12
        .value_kind:     by_value
      - .offset:         200
        .size:           4
        .value_kind:     hidden_block_count_x
      - .offset:         204
        .size:           4
        .value_kind:     hidden_block_count_y
      - .offset:         208
        .size:           4
        .value_kind:     hidden_block_count_z
      - .offset:         212
        .size:           2
        .value_kind:     hidden_group_size_x
      - .offset:         214
        .size:           2
        .value_kind:     hidden_group_size_y
      - .offset:         216
        .size:           2
        .value_kind:     hidden_group_size_z
      - .offset:         218
        .size:           2
        .value_kind:     hidden_remainder_x
      - .offset:         220
        .size:           2
        .value_kind:     hidden_remainder_y
      - .offset:         222
        .size:           2
        .value_kind:     hidden_remainder_z
      - .offset:         240
        .size:           8
        .value_kind:     hidden_global_offset_x
      - .offset:         248
        .size:           8
        .value_kind:     hidden_global_offset_y
      - .offset:         256
        .size:           8
        .value_kind:     hidden_global_offset_z
      - .offset:         264
        .size:           2
        .value_kind:     hidden_grid_dims
    .group_segment_fixed_size: 0
    .kernarg_segment_align: 8
    .kernarg_segment_size: 456
    .language:       OpenCL C
    .language_version:
      - 2
      - 0
    .max_flat_workgroup_size: 1024
    .name:           _ZL16k_set_rows_quantIl10block_q4_0Li32ETnPFvPKfPT0_EXadL_ZL23quantize_f32_q4_0_blockS2_PS0_EEEvS2_PKT_S4_llllllllllllll15HIP_vector_typeIjLj3EESC_SC_SC_SC_
    .private_segment_fixed_size: 0
    .sgpr_count:     46
    .sgpr_spill_count: 0
    .symbol:         _ZL16k_set_rows_quantIl10block_q4_0Li32ETnPFvPKfPT0_EXadL_ZL23quantize_f32_q4_0_blockS2_PS0_EEEvS2_PKT_S4_llllllllllllll15HIP_vector_typeIjLj3EESC_SC_SC_SC_.kd
    .uniform_work_group_size: 1
    .uses_dynamic_stack: false
    .vgpr_count:     45
    .vgpr_spill_count: 0
    .wavefront_size: 64
  - .agpr_count:     0
    .args:
      - .actual_access:  read_only
        .address_space:  global
        .offset:         0
        .size:           8
        .value_kind:     global_buffer
      - .actual_access:  read_only
        .address_space:  global
        .offset:         8
        .size:           8
        .value_kind:     global_buffer
      - .actual_access:  write_only
        .address_space:  global
        .offset:         16
        .size:           8
        .value_kind:     global_buffer
      - .offset:         24
        .size:           8
        .value_kind:     by_value
      - .offset:         32
        .size:           8
        .value_kind:     by_value
      - .offset:         40
        .size:           8
        .value_kind:     by_value
      - .offset:         48
        .size:           8
        .value_kind:     by_value
      - .offset:         56
        .size:           8
        .value_kind:     by_value
      - .offset:         64
        .size:           8
        .value_kind:     by_value
      - .offset:         72
        .size:           8
        .value_kind:     by_value
      - .offset:         80
        .size:           8
        .value_kind:     by_value
      - .offset:         88
        .size:           8
        .value_kind:     by_value
      - .offset:         96
        .size:           8
        .value_kind:     by_value
      - .offset:         104
        .size:           8
        .value_kind:     by_value
      - .offset:         112
        .size:           8
        .value_kind:     by_value
      - .offset:         120
        .size:           8
        .value_kind:     by_value
      - .offset:         128
        .size:           8
        .value_kind:     by_value
      - .offset:         136
        .size:           12
        .value_kind:     by_value
      - .offset:         148
        .size:           12
        .value_kind:     by_value
      - .offset:         160
        .size:           12
        .value_kind:     by_value
      - .offset:         172
        .size:           12
        .value_kind:     by_value
      - .offset:         184
        .size:           12
        .value_kind:     by_value
      - .offset:         200
        .size:           4
        .value_kind:     hidden_block_count_x
      - .offset:         204
        .size:           4
        .value_kind:     hidden_block_count_y
      - .offset:         208
        .size:           4
        .value_kind:     hidden_block_count_z
      - .offset:         212
        .size:           2
        .value_kind:     hidden_group_size_x
      - .offset:         214
        .size:           2
        .value_kind:     hidden_group_size_y
      - .offset:         216
        .size:           2
        .value_kind:     hidden_group_size_z
      - .offset:         218
        .size:           2
        .value_kind:     hidden_remainder_x
      - .offset:         220
        .size:           2
        .value_kind:     hidden_remainder_y
      - .offset:         222
        .size:           2
        .value_kind:     hidden_remainder_z
      - .offset:         240
        .size:           8
        .value_kind:     hidden_global_offset_x
      - .offset:         248
        .size:           8
        .value_kind:     hidden_global_offset_y
      - .offset:         256
        .size:           8
        .value_kind:     hidden_global_offset_z
      - .offset:         264
        .size:           2
        .value_kind:     hidden_grid_dims
    .group_segment_fixed_size: 0
    .kernarg_segment_align: 8
    .kernarg_segment_size: 456
    .language:       OpenCL C
    .language_version:
      - 2
      - 0
    .max_flat_workgroup_size: 1024
    .name:           _ZL16k_set_rows_quantIl10block_q4_1Li32ETnPFvPKfPT0_EXadL_ZL23quantize_f32_q4_1_blockS2_PS0_EEEvS2_PKT_S4_llllllllllllll15HIP_vector_typeIjLj3EESC_SC_SC_SC_
    .private_segment_fixed_size: 0
    .sgpr_count:     46
    .sgpr_spill_count: 0
    .symbol:         _ZL16k_set_rows_quantIl10block_q4_1Li32ETnPFvPKfPT0_EXadL_ZL23quantize_f32_q4_1_blockS2_PS0_EEEvS2_PKT_S4_llllllllllllll15HIP_vector_typeIjLj3EESC_SC_SC_SC_.kd
    .uniform_work_group_size: 1
    .uses_dynamic_stack: false
    .vgpr_count:     43
    .vgpr_spill_count: 0
    .wavefront_size: 64
  - .agpr_count:     0
    .args:
      - .actual_access:  read_only
        .address_space:  global
        .offset:         0
        .size:           8
        .value_kind:     global_buffer
      - .actual_access:  read_only
        .address_space:  global
        .offset:         8
        .size:           8
        .value_kind:     global_buffer
      - .actual_access:  write_only
        .address_space:  global
        .offset:         16
        .size:           8
        .value_kind:     global_buffer
      - .offset:         24
        .size:           8
        .value_kind:     by_value
      - .offset:         32
        .size:           8
        .value_kind:     by_value
      - .offset:         40
        .size:           8
        .value_kind:     by_value
      - .offset:         48
        .size:           8
        .value_kind:     by_value
      - .offset:         56
        .size:           8
        .value_kind:     by_value
      - .offset:         64
        .size:           8
        .value_kind:     by_value
      - .offset:         72
        .size:           8
        .value_kind:     by_value
      - .offset:         80
        .size:           8
        .value_kind:     by_value
      - .offset:         88
        .size:           8
        .value_kind:     by_value
      - .offset:         96
        .size:           8
        .value_kind:     by_value
      - .offset:         104
        .size:           8
        .value_kind:     by_value
      - .offset:         112
        .size:           8
        .value_kind:     by_value
      - .offset:         120
        .size:           8
        .value_kind:     by_value
      - .offset:         128
        .size:           8
        .value_kind:     by_value
      - .offset:         136
        .size:           12
        .value_kind:     by_value
      - .offset:         148
        .size:           12
        .value_kind:     by_value
      - .offset:         160
        .size:           12
        .value_kind:     by_value
      - .offset:         172
        .size:           12
        .value_kind:     by_value
      - .offset:         184
        .size:           12
        .value_kind:     by_value
      - .offset:         200
        .size:           4
        .value_kind:     hidden_block_count_x
      - .offset:         204
        .size:           4
        .value_kind:     hidden_block_count_y
      - .offset:         208
        .size:           4
        .value_kind:     hidden_block_count_z
      - .offset:         212
        .size:           2
        .value_kind:     hidden_group_size_x
      - .offset:         214
        .size:           2
        .value_kind:     hidden_group_size_y
      - .offset:         216
        .size:           2
        .value_kind:     hidden_group_size_z
      - .offset:         218
        .size:           2
        .value_kind:     hidden_remainder_x
      - .offset:         220
        .size:           2
        .value_kind:     hidden_remainder_y
      - .offset:         222
        .size:           2
        .value_kind:     hidden_remainder_z
      - .offset:         240
        .size:           8
        .value_kind:     hidden_global_offset_x
      - .offset:         248
        .size:           8
        .value_kind:     hidden_global_offset_y
      - .offset:         256
        .size:           8
        .value_kind:     hidden_global_offset_z
      - .offset:         264
        .size:           2
        .value_kind:     hidden_grid_dims
    .group_segment_fixed_size: 0
    .kernarg_segment_align: 8
    .kernarg_segment_size: 456
    .language:       OpenCL C
    .language_version:
      - 2
      - 0
    .max_flat_workgroup_size: 1024
    .name:           _ZL16k_set_rows_quantIl10block_q5_0Li32ETnPFvPKfPT0_EXadL_ZL23quantize_f32_q5_0_blockS2_PS0_EEEvS2_PKT_S4_llllllllllllll15HIP_vector_typeIjLj3EESC_SC_SC_SC_
    .private_segment_fixed_size: 0
    .sgpr_count:     46
    .sgpr_spill_count: 0
    .symbol:         _ZL16k_set_rows_quantIl10block_q5_0Li32ETnPFvPKfPT0_EXadL_ZL23quantize_f32_q5_0_blockS2_PS0_EEEvS2_PKT_S4_llllllllllllll15HIP_vector_typeIjLj3EESC_SC_SC_SC_.kd
    .uniform_work_group_size: 1
    .uses_dynamic_stack: false
    .vgpr_count:     49
    .vgpr_spill_count: 0
    .wavefront_size: 64
  - .agpr_count:     0
    .args:
      - .actual_access:  read_only
        .address_space:  global
        .offset:         0
        .size:           8
        .value_kind:     global_buffer
      - .actual_access:  read_only
        .address_space:  global
        .offset:         8
        .size:           8
        .value_kind:     global_buffer
      - .actual_access:  write_only
        .address_space:  global
        .offset:         16
        .size:           8
        .value_kind:     global_buffer
      - .offset:         24
        .size:           8
        .value_kind:     by_value
      - .offset:         32
        .size:           8
        .value_kind:     by_value
      - .offset:         40
        .size:           8
        .value_kind:     by_value
      - .offset:         48
        .size:           8
        .value_kind:     by_value
      - .offset:         56
        .size:           8
        .value_kind:     by_value
      - .offset:         64
        .size:           8
        .value_kind:     by_value
      - .offset:         72
        .size:           8
        .value_kind:     by_value
      - .offset:         80
        .size:           8
        .value_kind:     by_value
      - .offset:         88
        .size:           8
        .value_kind:     by_value
      - .offset:         96
        .size:           8
        .value_kind:     by_value
      - .offset:         104
        .size:           8
        .value_kind:     by_value
      - .offset:         112
        .size:           8
        .value_kind:     by_value
      - .offset:         120
        .size:           8
        .value_kind:     by_value
      - .offset:         128
        .size:           8
        .value_kind:     by_value
      - .offset:         136
        .size:           12
        .value_kind:     by_value
      - .offset:         148
        .size:           12
        .value_kind:     by_value
      - .offset:         160
        .size:           12
        .value_kind:     by_value
      - .offset:         172
        .size:           12
        .value_kind:     by_value
      - .offset:         184
        .size:           12
        .value_kind:     by_value
      - .offset:         200
        .size:           4
        .value_kind:     hidden_block_count_x
      - .offset:         204
        .size:           4
        .value_kind:     hidden_block_count_y
      - .offset:         208
        .size:           4
        .value_kind:     hidden_block_count_z
      - .offset:         212
        .size:           2
        .value_kind:     hidden_group_size_x
      - .offset:         214
        .size:           2
        .value_kind:     hidden_group_size_y
      - .offset:         216
        .size:           2
        .value_kind:     hidden_group_size_z
      - .offset:         218
        .size:           2
        .value_kind:     hidden_remainder_x
      - .offset:         220
        .size:           2
        .value_kind:     hidden_remainder_y
      - .offset:         222
        .size:           2
        .value_kind:     hidden_remainder_z
      - .offset:         240
        .size:           8
        .value_kind:     hidden_global_offset_x
      - .offset:         248
        .size:           8
        .value_kind:     hidden_global_offset_y
      - .offset:         256
        .size:           8
        .value_kind:     hidden_global_offset_z
      - .offset:         264
        .size:           2
        .value_kind:     hidden_grid_dims
    .group_segment_fixed_size: 0
    .kernarg_segment_align: 8
    .kernarg_segment_size: 456
    .language:       OpenCL C
    .language_version:
      - 2
      - 0
    .max_flat_workgroup_size: 1024
    .name:           _ZL16k_set_rows_quantIl10block_q5_1Li32ETnPFvPKfPT0_EXadL_ZL23quantize_f32_q5_1_blockS2_PS0_EEEvS2_PKT_S4_llllllllllllll15HIP_vector_typeIjLj3EESC_SC_SC_SC_
    .private_segment_fixed_size: 0
    .sgpr_count:     46
    .sgpr_spill_count: 0
    .symbol:         _ZL16k_set_rows_quantIl10block_q5_1Li32ETnPFvPKfPT0_EXadL_ZL23quantize_f32_q5_1_blockS2_PS0_EEEvS2_PKT_S4_llllllllllllll15HIP_vector_typeIjLj3EESC_SC_SC_SC_.kd
    .uniform_work_group_size: 1
    .uses_dynamic_stack: false
    .vgpr_count:     46
    .vgpr_spill_count: 0
    .wavefront_size: 64
  - .agpr_count:     0
    .args:
      - .actual_access:  read_only
        .address_space:  global
        .offset:         0
        .size:           8
        .value_kind:     global_buffer
      - .actual_access:  read_only
        .address_space:  global
        .offset:         8
        .size:           8
        .value_kind:     global_buffer
      - .actual_access:  write_only
        .address_space:  global
        .offset:         16
        .size:           8
        .value_kind:     global_buffer
      - .offset:         24
        .size:           8
        .value_kind:     by_value
      - .offset:         32
        .size:           8
        .value_kind:     by_value
      - .offset:         40
        .size:           8
        .value_kind:     by_value
      - .offset:         48
        .size:           8
        .value_kind:     by_value
      - .offset:         56
        .size:           8
        .value_kind:     by_value
      - .offset:         64
        .size:           8
        .value_kind:     by_value
      - .offset:         72
        .size:           8
        .value_kind:     by_value
      - .offset:         80
        .size:           8
        .value_kind:     by_value
      - .offset:         88
        .size:           8
        .value_kind:     by_value
      - .offset:         96
        .size:           8
        .value_kind:     by_value
      - .offset:         104
        .size:           8
        .value_kind:     by_value
      - .offset:         112
        .size:           8
        .value_kind:     by_value
      - .offset:         120
        .size:           8
        .value_kind:     by_value
      - .offset:         128
        .size:           8
        .value_kind:     by_value
      - .offset:         136
        .size:           12
        .value_kind:     by_value
      - .offset:         148
        .size:           12
        .value_kind:     by_value
      - .offset:         160
        .size:           12
        .value_kind:     by_value
      - .offset:         172
        .size:           12
        .value_kind:     by_value
      - .offset:         184
        .size:           12
        .value_kind:     by_value
      - .offset:         200
        .size:           4
        .value_kind:     hidden_block_count_x
      - .offset:         204
        .size:           4
        .value_kind:     hidden_block_count_y
      - .offset:         208
        .size:           4
        .value_kind:     hidden_block_count_z
      - .offset:         212
        .size:           2
        .value_kind:     hidden_group_size_x
      - .offset:         214
        .size:           2
        .value_kind:     hidden_group_size_y
      - .offset:         216
        .size:           2
        .value_kind:     hidden_group_size_z
      - .offset:         218
        .size:           2
        .value_kind:     hidden_remainder_x
      - .offset:         220
        .size:           2
        .value_kind:     hidden_remainder_y
      - .offset:         222
        .size:           2
        .value_kind:     hidden_remainder_z
      - .offset:         240
        .size:           8
        .value_kind:     hidden_global_offset_x
      - .offset:         248
        .size:           8
        .value_kind:     hidden_global_offset_y
      - .offset:         256
        .size:           8
        .value_kind:     hidden_global_offset_z
      - .offset:         264
        .size:           2
        .value_kind:     hidden_grid_dims
    .group_segment_fixed_size: 0
    .kernarg_segment_align: 8
    .kernarg_segment_size: 456
    .language:       OpenCL C
    .language_version:
      - 2
      - 0
    .max_flat_workgroup_size: 1024
    .name:           _ZL16k_set_rows_quantIl10block_q8_0Li32ETnPFvPKfPT0_EXadL_ZL23quantize_f32_q8_0_blockS2_PS0_EEEvS2_PKT_S4_llllllllllllll15HIP_vector_typeIjLj3EESC_SC_SC_SC_
    .private_segment_fixed_size: 0
    .sgpr_count:     46
    .sgpr_spill_count: 0
    .symbol:         _ZL16k_set_rows_quantIl10block_q8_0Li32ETnPFvPKfPT0_EXadL_ZL23quantize_f32_q8_0_blockS2_PS0_EEEvS2_PKT_S4_llllllllllllll15HIP_vector_typeIjLj3EESC_SC_SC_SC_.kd
    .uniform_work_group_size: 1
    .uses_dynamic_stack: false
    .vgpr_count:     46
    .vgpr_spill_count: 0
    .wavefront_size: 64
  - .agpr_count:     0
    .args:
      - .actual_access:  read_only
        .address_space:  global
        .offset:         0
        .size:           8
        .value_kind:     global_buffer
      - .actual_access:  read_only
        .address_space:  global
        .offset:         8
        .size:           8
        .value_kind:     global_buffer
      - .actual_access:  write_only
        .address_space:  global
        .offset:         16
        .size:           8
        .value_kind:     global_buffer
      - .offset:         24
        .size:           8
        .value_kind:     by_value
      - .offset:         32
        .size:           8
        .value_kind:     by_value
      - .offset:         40
        .size:           8
        .value_kind:     by_value
      - .offset:         48
        .size:           8
        .value_kind:     by_value
      - .offset:         56
        .size:           8
        .value_kind:     by_value
      - .offset:         64
        .size:           8
        .value_kind:     by_value
      - .offset:         72
        .size:           8
        .value_kind:     by_value
      - .offset:         80
        .size:           8
        .value_kind:     by_value
      - .offset:         88
        .size:           8
        .value_kind:     by_value
      - .offset:         96
        .size:           8
        .value_kind:     by_value
      - .offset:         104
        .size:           8
        .value_kind:     by_value
      - .offset:         112
        .size:           8
        .value_kind:     by_value
      - .offset:         120
        .size:           8
        .value_kind:     by_value
      - .offset:         128
        .size:           8
        .value_kind:     by_value
      - .offset:         136
        .size:           12
        .value_kind:     by_value
      - .offset:         148
        .size:           12
        .value_kind:     by_value
      - .offset:         160
        .size:           12
        .value_kind:     by_value
      - .offset:         172
        .size:           12
        .value_kind:     by_value
      - .offset:         184
        .size:           12
        .value_kind:     by_value
      - .offset:         200
        .size:           4
        .value_kind:     hidden_block_count_x
      - .offset:         204
        .size:           4
        .value_kind:     hidden_block_count_y
      - .offset:         208
        .size:           4
        .value_kind:     hidden_block_count_z
      - .offset:         212
        .size:           2
        .value_kind:     hidden_group_size_x
      - .offset:         214
        .size:           2
        .value_kind:     hidden_group_size_y
      - .offset:         216
        .size:           2
        .value_kind:     hidden_group_size_z
      - .offset:         218
        .size:           2
        .value_kind:     hidden_remainder_x
      - .offset:         220
        .size:           2
        .value_kind:     hidden_remainder_y
      - .offset:         222
        .size:           2
        .value_kind:     hidden_remainder_z
      - .offset:         240
        .size:           8
        .value_kind:     hidden_global_offset_x
      - .offset:         248
        .size:           8
        .value_kind:     hidden_global_offset_y
      - .offset:         256
        .size:           8
        .value_kind:     hidden_global_offset_z
      - .offset:         264
        .size:           2
        .value_kind:     hidden_grid_dims
    .group_segment_fixed_size: 0
    .kernarg_segment_align: 8
    .kernarg_segment_size: 456
    .language:       OpenCL C
    .language_version:
      - 2
      - 0
    .max_flat_workgroup_size: 1024
    .name:           _ZL16k_set_rows_quantIl12block_iq4_nlLi32ETnPFvPKfPT0_EXadL_ZL25quantize_f32_iq4_nl_blockS2_PS0_EEEvS2_PKT_S4_llllllllllllll15HIP_vector_typeIjLj3EESC_SC_SC_SC_
    .private_segment_fixed_size: 0
    .sgpr_count:     46
    .sgpr_spill_count: 0
    .symbol:         _ZL16k_set_rows_quantIl12block_iq4_nlLi32ETnPFvPKfPT0_EXadL_ZL25quantize_f32_iq4_nl_blockS2_PS0_EEEvS2_PKT_S4_llllllllllllll15HIP_vector_typeIjLj3EESC_SC_SC_SC_.kd
    .uniform_work_group_size: 1
    .uses_dynamic_stack: false
    .vgpr_count:     48
    .vgpr_spill_count: 0
    .wavefront_size: 64
  - .agpr_count:     0
    .args:
      - .address_space:  global
        .offset:         0
        .size:           8
        .value_kind:     global_buffer
      - .address_space:  global
        .offset:         8
        .size:           8
        .value_kind:     global_buffer
      - .address_space:  global
        .offset:         16
        .size:           8
        .value_kind:     global_buffer
      - .offset:         24
        .size:           8
        .value_kind:     by_value
      - .offset:         32
        .size:           8
        .value_kind:     by_value
      - .offset:         40
        .size:           8
        .value_kind:     by_value
      - .offset:         48
        .size:           8
        .value_kind:     by_value
      - .offset:         56
        .size:           8
        .value_kind:     by_value
      - .offset:         64
        .size:           8
        .value_kind:     by_value
      - .offset:         72
        .size:           8
        .value_kind:     by_value
      - .offset:         80
        .size:           8
        .value_kind:     by_value
      - .offset:         88
        .size:           8
        .value_kind:     by_value
      - .offset:         96
        .size:           8
        .value_kind:     by_value
      - .offset:         104
        .size:           8
        .value_kind:     by_value
      - .offset:         112
        .size:           8
        .value_kind:     by_value
      - .offset:         120
        .size:           8
        .value_kind:     by_value
      - .offset:         128
        .size:           8
        .value_kind:     by_value
      - .offset:         136
        .size:           12
        .value_kind:     by_value
      - .offset:         148
        .size:           12
        .value_kind:     by_value
      - .offset:         160
        .size:           12
        .value_kind:     by_value
      - .offset:         172
        .size:           12
        .value_kind:     by_value
      - .offset:         184
        .size:           12
        .value_kind:     by_value
      - .offset:         200
        .size:           4
        .value_kind:     hidden_block_count_x
      - .offset:         204
        .size:           4
        .value_kind:     hidden_block_count_y
      - .offset:         208
        .size:           4
        .value_kind:     hidden_block_count_z
      - .offset:         212
        .size:           2
        .value_kind:     hidden_group_size_x
      - .offset:         214
        .size:           2
        .value_kind:     hidden_group_size_y
      - .offset:         216
        .size:           2
        .value_kind:     hidden_group_size_z
      - .offset:         218
        .size:           2
        .value_kind:     hidden_remainder_x
      - .offset:         220
        .size:           2
        .value_kind:     hidden_remainder_y
      - .offset:         222
        .size:           2
        .value_kind:     hidden_remainder_z
      - .offset:         240
        .size:           8
        .value_kind:     hidden_global_offset_x
      - .offset:         248
        .size:           8
        .value_kind:     hidden_global_offset_y
      - .offset:         256
        .size:           8
        .value_kind:     hidden_global_offset_z
      - .offset:         264
        .size:           2
        .value_kind:     hidden_grid_dims
    .group_segment_fixed_size: 0
    .kernarg_segment_align: 8
    .kernarg_segment_size: 456
    .language:       OpenCL C
    .language_version:
      - 2
      - 0
    .max_flat_workgroup_size: 1024
    .name:           _ZL10k_set_rowsIfifEvPKT_PKT0_PT1_llllllllllllll15HIP_vector_typeIjLj3EES9_S9_S9_S9_
    .private_segment_fixed_size: 0
    .sgpr_count:     46
    .sgpr_spill_count: 0
    .symbol:         _ZL10k_set_rowsIfifEvPKT_PKT0_PT1_llllllllllllll15HIP_vector_typeIjLj3EES9_S9_S9_S9_.kd
    .uniform_work_group_size: 1
    .uses_dynamic_stack: false
    .vgpr_count:     15
    .vgpr_spill_count: 0
    .wavefront_size: 64
  - .agpr_count:     0
    .args:
      - .address_space:  global
        .offset:         0
        .size:           8
        .value_kind:     global_buffer
      - .address_space:  global
        .offset:         8
        .size:           8
        .value_kind:     global_buffer
      - .address_space:  global
        .offset:         16
        .size:           8
        .value_kind:     global_buffer
      - .offset:         24
        .size:           8
        .value_kind:     by_value
      - .offset:         32
        .size:           8
        .value_kind:     by_value
      - .offset:         40
        .size:           8
        .value_kind:     by_value
      - .offset:         48
        .size:           8
        .value_kind:     by_value
      - .offset:         56
        .size:           8
        .value_kind:     by_value
      - .offset:         64
        .size:           8
        .value_kind:     by_value
      - .offset:         72
        .size:           8
        .value_kind:     by_value
      - .offset:         80
        .size:           8
        .value_kind:     by_value
      - .offset:         88
        .size:           8
        .value_kind:     by_value
      - .offset:         96
        .size:           8
        .value_kind:     by_value
      - .offset:         104
        .size:           8
        .value_kind:     by_value
      - .offset:         112
        .size:           8
        .value_kind:     by_value
      - .offset:         120
        .size:           8
        .value_kind:     by_value
      - .offset:         128
        .size:           8
        .value_kind:     by_value
      - .offset:         136
        .size:           12
        .value_kind:     by_value
      - .offset:         148
        .size:           12
        .value_kind:     by_value
      - .offset:         160
        .size:           12
        .value_kind:     by_value
      - .offset:         172
        .size:           12
        .value_kind:     by_value
      - .offset:         184
        .size:           12
        .value_kind:     by_value
      - .offset:         200
        .size:           4
        .value_kind:     hidden_block_count_x
      - .offset:         204
        .size:           4
        .value_kind:     hidden_block_count_y
      - .offset:         208
        .size:           4
        .value_kind:     hidden_block_count_z
      - .offset:         212
        .size:           2
        .value_kind:     hidden_group_size_x
      - .offset:         214
        .size:           2
        .value_kind:     hidden_group_size_y
      - .offset:         216
        .size:           2
        .value_kind:     hidden_group_size_z
      - .offset:         218
        .size:           2
        .value_kind:     hidden_remainder_x
      - .offset:         220
        .size:           2
        .value_kind:     hidden_remainder_y
      - .offset:         222
        .size:           2
        .value_kind:     hidden_remainder_z
      - .offset:         240
        .size:           8
        .value_kind:     hidden_global_offset_x
      - .offset:         248
        .size:           8
        .value_kind:     hidden_global_offset_y
      - .offset:         256
        .size:           8
        .value_kind:     hidden_global_offset_z
      - .offset:         264
        .size:           2
        .value_kind:     hidden_grid_dims
    .group_segment_fixed_size: 0
    .kernarg_segment_align: 8
    .kernarg_segment_size: 456
    .language:       OpenCL C
    .language_version:
      - 2
      - 0
    .max_flat_workgroup_size: 1024
    .name:           _ZL10k_set_rowsIfi6__halfEvPKT_PKT0_PT1_llllllllllllll15HIP_vector_typeIjLj3EESA_SA_SA_SA_
    .private_segment_fixed_size: 0
    .sgpr_count:     46
    .sgpr_spill_count: 0
    .symbol:         _ZL10k_set_rowsIfi6__halfEvPKT_PKT0_PT1_llllllllllllll15HIP_vector_typeIjLj3EESA_SA_SA_SA_.kd
    .uniform_work_group_size: 1
    .uses_dynamic_stack: false
    .vgpr_count:     15
    .vgpr_spill_count: 0
    .wavefront_size: 64
  - .agpr_count:     0
    .args:
      - .address_space:  global
        .offset:         0
        .size:           8
        .value_kind:     global_buffer
      - .address_space:  global
        .offset:         8
        .size:           8
        .value_kind:     global_buffer
      - .address_space:  global
        .offset:         16
        .size:           8
        .value_kind:     global_buffer
      - .offset:         24
        .size:           8
        .value_kind:     by_value
      - .offset:         32
        .size:           8
        .value_kind:     by_value
      - .offset:         40
        .size:           8
        .value_kind:     by_value
      - .offset:         48
        .size:           8
        .value_kind:     by_value
      - .offset:         56
        .size:           8
        .value_kind:     by_value
      - .offset:         64
        .size:           8
        .value_kind:     by_value
      - .offset:         72
        .size:           8
        .value_kind:     by_value
      - .offset:         80
        .size:           8
        .value_kind:     by_value
      - .offset:         88
        .size:           8
        .value_kind:     by_value
      - .offset:         96
        .size:           8
        .value_kind:     by_value
      - .offset:         104
        .size:           8
        .value_kind:     by_value
      - .offset:         112
        .size:           8
        .value_kind:     by_value
      - .offset:         120
        .size:           8
        .value_kind:     by_value
      - .offset:         128
        .size:           8
        .value_kind:     by_value
      - .offset:         136
        .size:           12
        .value_kind:     by_value
      - .offset:         148
        .size:           12
        .value_kind:     by_value
      - .offset:         160
        .size:           12
        .value_kind:     by_value
      - .offset:         172
        .size:           12
        .value_kind:     by_value
      - .offset:         184
        .size:           12
        .value_kind:     by_value
      - .offset:         200
        .size:           4
        .value_kind:     hidden_block_count_x
      - .offset:         204
        .size:           4
        .value_kind:     hidden_block_count_y
      - .offset:         208
        .size:           4
        .value_kind:     hidden_block_count_z
      - .offset:         212
        .size:           2
        .value_kind:     hidden_group_size_x
      - .offset:         214
        .size:           2
        .value_kind:     hidden_group_size_y
      - .offset:         216
        .size:           2
        .value_kind:     hidden_group_size_z
      - .offset:         218
        .size:           2
        .value_kind:     hidden_remainder_x
      - .offset:         220
        .size:           2
        .value_kind:     hidden_remainder_y
      - .offset:         222
        .size:           2
        .value_kind:     hidden_remainder_z
      - .offset:         240
        .size:           8
        .value_kind:     hidden_global_offset_x
      - .offset:         248
        .size:           8
        .value_kind:     hidden_global_offset_y
      - .offset:         256
        .size:           8
        .value_kind:     hidden_global_offset_z
      - .offset:         264
        .size:           2
        .value_kind:     hidden_grid_dims
    .group_segment_fixed_size: 0
    .kernarg_segment_align: 8
    .kernarg_segment_size: 456
    .language:       OpenCL C
    .language_version:
      - 2
      - 0
    .max_flat_workgroup_size: 1024
    .name:           _ZL10k_set_rowsIfi14__hip_bfloat16EvPKT_PKT0_PT1_llllllllllllll15HIP_vector_typeIjLj3EESA_SA_SA_SA_
    .private_segment_fixed_size: 0
    .sgpr_count:     46
    .sgpr_spill_count: 0
    .symbol:         _ZL10k_set_rowsIfi14__hip_bfloat16EvPKT_PKT0_PT1_llllllllllllll15HIP_vector_typeIjLj3EESA_SA_SA_SA_.kd
    .uniform_work_group_size: 1
    .uses_dynamic_stack: false
    .vgpr_count:     15
    .vgpr_spill_count: 0
    .wavefront_size: 64
  - .agpr_count:     0
    .args:
      - .actual_access:  read_only
        .address_space:  global
        .offset:         0
        .size:           8
        .value_kind:     global_buffer
      - .actual_access:  read_only
        .address_space:  global
        .offset:         8
        .size:           8
        .value_kind:     global_buffer
      - .actual_access:  write_only
        .address_space:  global
        .offset:         16
        .size:           8
        .value_kind:     global_buffer
      - .offset:         24
        .size:           8
        .value_kind:     by_value
      - .offset:         32
        .size:           8
        .value_kind:     by_value
      - .offset:         40
        .size:           8
        .value_kind:     by_value
      - .offset:         48
        .size:           8
        .value_kind:     by_value
      - .offset:         56
        .size:           8
        .value_kind:     by_value
      - .offset:         64
        .size:           8
        .value_kind:     by_value
      - .offset:         72
        .size:           8
        .value_kind:     by_value
      - .offset:         80
        .size:           8
        .value_kind:     by_value
      - .offset:         88
        .size:           8
        .value_kind:     by_value
      - .offset:         96
        .size:           8
        .value_kind:     by_value
      - .offset:         104
        .size:           8
        .value_kind:     by_value
      - .offset:         112
        .size:           8
        .value_kind:     by_value
      - .offset:         120
        .size:           8
        .value_kind:     by_value
      - .offset:         128
        .size:           8
        .value_kind:     by_value
      - .offset:         136
        .size:           12
        .value_kind:     by_value
      - .offset:         148
        .size:           12
        .value_kind:     by_value
      - .offset:         160
        .size:           12
        .value_kind:     by_value
      - .offset:         172
        .size:           12
        .value_kind:     by_value
      - .offset:         184
        .size:           12
        .value_kind:     by_value
      - .offset:         200
        .size:           4
        .value_kind:     hidden_block_count_x
      - .offset:         204
        .size:           4
        .value_kind:     hidden_block_count_y
      - .offset:         208
        .size:           4
        .value_kind:     hidden_block_count_z
      - .offset:         212
        .size:           2
        .value_kind:     hidden_group_size_x
      - .offset:         214
        .size:           2
        .value_kind:     hidden_group_size_y
      - .offset:         216
        .size:           2
        .value_kind:     hidden_group_size_z
      - .offset:         218
        .size:           2
        .value_kind:     hidden_remainder_x
      - .offset:         220
        .size:           2
        .value_kind:     hidden_remainder_y
      - .offset:         222
        .size:           2
        .value_kind:     hidden_remainder_z
      - .offset:         240
        .size:           8
        .value_kind:     hidden_global_offset_x
      - .offset:         248
        .size:           8
        .value_kind:     hidden_global_offset_y
      - .offset:         256
        .size:           8
        .value_kind:     hidden_global_offset_z
      - .offset:         264
        .size:           2
        .value_kind:     hidden_grid_dims
    .group_segment_fixed_size: 0
    .kernarg_segment_align: 8
    .kernarg_segment_size: 456
    .language:       OpenCL C
    .language_version:
      - 2
      - 0
    .max_flat_workgroup_size: 1024
    .name:           _ZL16k_set_rows_quantIi10block_q4_0Li32ETnPFvPKfPT0_EXadL_ZL23quantize_f32_q4_0_blockS2_PS0_EEEvS2_PKT_S4_llllllllllllll15HIP_vector_typeIjLj3EESC_SC_SC_SC_
    .private_segment_fixed_size: 0
    .sgpr_count:     46
    .sgpr_spill_count: 0
    .symbol:         _ZL16k_set_rows_quantIi10block_q4_0Li32ETnPFvPKfPT0_EXadL_ZL23quantize_f32_q4_0_blockS2_PS0_EEEvS2_PKT_S4_llllllllllllll15HIP_vector_typeIjLj3EESC_SC_SC_SC_.kd
    .uniform_work_group_size: 1
    .uses_dynamic_stack: false
    .vgpr_count:     45
    .vgpr_spill_count: 0
    .wavefront_size: 64
  - .agpr_count:     0
    .args:
      - .actual_access:  read_only
        .address_space:  global
        .offset:         0
        .size:           8
        .value_kind:     global_buffer
      - .actual_access:  read_only
        .address_space:  global
        .offset:         8
        .size:           8
        .value_kind:     global_buffer
      - .actual_access:  write_only
        .address_space:  global
        .offset:         16
        .size:           8
        .value_kind:     global_buffer
      - .offset:         24
        .size:           8
        .value_kind:     by_value
      - .offset:         32
        .size:           8
        .value_kind:     by_value
      - .offset:         40
        .size:           8
        .value_kind:     by_value
      - .offset:         48
        .size:           8
        .value_kind:     by_value
      - .offset:         56
        .size:           8
        .value_kind:     by_value
      - .offset:         64
        .size:           8
        .value_kind:     by_value
      - .offset:         72
        .size:           8
        .value_kind:     by_value
      - .offset:         80
        .size:           8
        .value_kind:     by_value
      - .offset:         88
        .size:           8
        .value_kind:     by_value
      - .offset:         96
        .size:           8
        .value_kind:     by_value
      - .offset:         104
        .size:           8
        .value_kind:     by_value
      - .offset:         112
        .size:           8
        .value_kind:     by_value
      - .offset:         120
        .size:           8
        .value_kind:     by_value
      - .offset:         128
        .size:           8
        .value_kind:     by_value
      - .offset:         136
        .size:           12
        .value_kind:     by_value
      - .offset:         148
        .size:           12
        .value_kind:     by_value
      - .offset:         160
        .size:           12
        .value_kind:     by_value
      - .offset:         172
        .size:           12
        .value_kind:     by_value
      - .offset:         184
        .size:           12
        .value_kind:     by_value
      - .offset:         200
        .size:           4
        .value_kind:     hidden_block_count_x
      - .offset:         204
        .size:           4
        .value_kind:     hidden_block_count_y
      - .offset:         208
        .size:           4
        .value_kind:     hidden_block_count_z
      - .offset:         212
        .size:           2
        .value_kind:     hidden_group_size_x
      - .offset:         214
        .size:           2
        .value_kind:     hidden_group_size_y
      - .offset:         216
        .size:           2
        .value_kind:     hidden_group_size_z
      - .offset:         218
        .size:           2
        .value_kind:     hidden_remainder_x
      - .offset:         220
        .size:           2
        .value_kind:     hidden_remainder_y
      - .offset:         222
        .size:           2
        .value_kind:     hidden_remainder_z
      - .offset:         240
        .size:           8
        .value_kind:     hidden_global_offset_x
      - .offset:         248
        .size:           8
        .value_kind:     hidden_global_offset_y
      - .offset:         256
        .size:           8
        .value_kind:     hidden_global_offset_z
      - .offset:         264
        .size:           2
        .value_kind:     hidden_grid_dims
    .group_segment_fixed_size: 0
    .kernarg_segment_align: 8
    .kernarg_segment_size: 456
    .language:       OpenCL C
    .language_version:
      - 2
      - 0
    .max_flat_workgroup_size: 1024
    .name:           _ZL16k_set_rows_quantIi10block_q4_1Li32ETnPFvPKfPT0_EXadL_ZL23quantize_f32_q4_1_blockS2_PS0_EEEvS2_PKT_S4_llllllllllllll15HIP_vector_typeIjLj3EESC_SC_SC_SC_
    .private_segment_fixed_size: 0
    .sgpr_count:     46
    .sgpr_spill_count: 0
    .symbol:         _ZL16k_set_rows_quantIi10block_q4_1Li32ETnPFvPKfPT0_EXadL_ZL23quantize_f32_q4_1_blockS2_PS0_EEEvS2_PKT_S4_llllllllllllll15HIP_vector_typeIjLj3EESC_SC_SC_SC_.kd
    .uniform_work_group_size: 1
    .uses_dynamic_stack: false
    .vgpr_count:     43
    .vgpr_spill_count: 0
    .wavefront_size: 64
  - .agpr_count:     0
    .args:
      - .actual_access:  read_only
        .address_space:  global
        .offset:         0
        .size:           8
        .value_kind:     global_buffer
      - .actual_access:  read_only
        .address_space:  global
        .offset:         8
        .size:           8
        .value_kind:     global_buffer
      - .actual_access:  write_only
        .address_space:  global
        .offset:         16
        .size:           8
        .value_kind:     global_buffer
      - .offset:         24
        .size:           8
        .value_kind:     by_value
      - .offset:         32
        .size:           8
        .value_kind:     by_value
      - .offset:         40
        .size:           8
        .value_kind:     by_value
      - .offset:         48
        .size:           8
        .value_kind:     by_value
      - .offset:         56
        .size:           8
        .value_kind:     by_value
      - .offset:         64
        .size:           8
        .value_kind:     by_value
      - .offset:         72
        .size:           8
        .value_kind:     by_value
      - .offset:         80
        .size:           8
        .value_kind:     by_value
      - .offset:         88
        .size:           8
        .value_kind:     by_value
      - .offset:         96
        .size:           8
        .value_kind:     by_value
      - .offset:         104
        .size:           8
        .value_kind:     by_value
      - .offset:         112
        .size:           8
        .value_kind:     by_value
      - .offset:         120
        .size:           8
        .value_kind:     by_value
      - .offset:         128
        .size:           8
        .value_kind:     by_value
      - .offset:         136
        .size:           12
        .value_kind:     by_value
      - .offset:         148
        .size:           12
        .value_kind:     by_value
      - .offset:         160
        .size:           12
        .value_kind:     by_value
      - .offset:         172
        .size:           12
        .value_kind:     by_value
      - .offset:         184
        .size:           12
        .value_kind:     by_value
      - .offset:         200
        .size:           4
        .value_kind:     hidden_block_count_x
      - .offset:         204
        .size:           4
        .value_kind:     hidden_block_count_y
      - .offset:         208
        .size:           4
        .value_kind:     hidden_block_count_z
      - .offset:         212
        .size:           2
        .value_kind:     hidden_group_size_x
      - .offset:         214
        .size:           2
        .value_kind:     hidden_group_size_y
      - .offset:         216
        .size:           2
        .value_kind:     hidden_group_size_z
      - .offset:         218
        .size:           2
        .value_kind:     hidden_remainder_x
      - .offset:         220
        .size:           2
        .value_kind:     hidden_remainder_y
      - .offset:         222
        .size:           2
        .value_kind:     hidden_remainder_z
      - .offset:         240
        .size:           8
        .value_kind:     hidden_global_offset_x
      - .offset:         248
        .size:           8
        .value_kind:     hidden_global_offset_y
      - .offset:         256
        .size:           8
        .value_kind:     hidden_global_offset_z
      - .offset:         264
        .size:           2
        .value_kind:     hidden_grid_dims
    .group_segment_fixed_size: 0
    .kernarg_segment_align: 8
    .kernarg_segment_size: 456
    .language:       OpenCL C
    .language_version:
      - 2
      - 0
    .max_flat_workgroup_size: 1024
    .name:           _ZL16k_set_rows_quantIi10block_q5_0Li32ETnPFvPKfPT0_EXadL_ZL23quantize_f32_q5_0_blockS2_PS0_EEEvS2_PKT_S4_llllllllllllll15HIP_vector_typeIjLj3EESC_SC_SC_SC_
    .private_segment_fixed_size: 0
    .sgpr_count:     46
    .sgpr_spill_count: 0
    .symbol:         _ZL16k_set_rows_quantIi10block_q5_0Li32ETnPFvPKfPT0_EXadL_ZL23quantize_f32_q5_0_blockS2_PS0_EEEvS2_PKT_S4_llllllllllllll15HIP_vector_typeIjLj3EESC_SC_SC_SC_.kd
    .uniform_work_group_size: 1
    .uses_dynamic_stack: false
    .vgpr_count:     49
    .vgpr_spill_count: 0
    .wavefront_size: 64
  - .agpr_count:     0
    .args:
      - .actual_access:  read_only
        .address_space:  global
        .offset:         0
        .size:           8
        .value_kind:     global_buffer
      - .actual_access:  read_only
        .address_space:  global
        .offset:         8
        .size:           8
        .value_kind:     global_buffer
      - .actual_access:  write_only
        .address_space:  global
        .offset:         16
        .size:           8
        .value_kind:     global_buffer
      - .offset:         24
        .size:           8
        .value_kind:     by_value
      - .offset:         32
        .size:           8
        .value_kind:     by_value
      - .offset:         40
        .size:           8
        .value_kind:     by_value
      - .offset:         48
        .size:           8
        .value_kind:     by_value
      - .offset:         56
        .size:           8
        .value_kind:     by_value
      - .offset:         64
        .size:           8
        .value_kind:     by_value
      - .offset:         72
        .size:           8
        .value_kind:     by_value
      - .offset:         80
        .size:           8
        .value_kind:     by_value
      - .offset:         88
        .size:           8
        .value_kind:     by_value
      - .offset:         96
        .size:           8
        .value_kind:     by_value
      - .offset:         104
        .size:           8
        .value_kind:     by_value
      - .offset:         112
        .size:           8
        .value_kind:     by_value
      - .offset:         120
        .size:           8
        .value_kind:     by_value
      - .offset:         128
        .size:           8
        .value_kind:     by_value
      - .offset:         136
        .size:           12
        .value_kind:     by_value
      - .offset:         148
        .size:           12
        .value_kind:     by_value
      - .offset:         160
        .size:           12
        .value_kind:     by_value
      - .offset:         172
        .size:           12
        .value_kind:     by_value
      - .offset:         184
        .size:           12
        .value_kind:     by_value
      - .offset:         200
        .size:           4
        .value_kind:     hidden_block_count_x
      - .offset:         204
        .size:           4
        .value_kind:     hidden_block_count_y
      - .offset:         208
        .size:           4
        .value_kind:     hidden_block_count_z
      - .offset:         212
        .size:           2
        .value_kind:     hidden_group_size_x
      - .offset:         214
        .size:           2
        .value_kind:     hidden_group_size_y
      - .offset:         216
        .size:           2
        .value_kind:     hidden_group_size_z
      - .offset:         218
        .size:           2
        .value_kind:     hidden_remainder_x
      - .offset:         220
        .size:           2
        .value_kind:     hidden_remainder_y
      - .offset:         222
        .size:           2
        .value_kind:     hidden_remainder_z
      - .offset:         240
        .size:           8
        .value_kind:     hidden_global_offset_x
      - .offset:         248
        .size:           8
        .value_kind:     hidden_global_offset_y
      - .offset:         256
        .size:           8
        .value_kind:     hidden_global_offset_z
      - .offset:         264
        .size:           2
        .value_kind:     hidden_grid_dims
    .group_segment_fixed_size: 0
    .kernarg_segment_align: 8
    .kernarg_segment_size: 456
    .language:       OpenCL C
    .language_version:
      - 2
      - 0
    .max_flat_workgroup_size: 1024
    .name:           _ZL16k_set_rows_quantIi10block_q5_1Li32ETnPFvPKfPT0_EXadL_ZL23quantize_f32_q5_1_blockS2_PS0_EEEvS2_PKT_S4_llllllllllllll15HIP_vector_typeIjLj3EESC_SC_SC_SC_
    .private_segment_fixed_size: 0
    .sgpr_count:     46
    .sgpr_spill_count: 0
    .symbol:         _ZL16k_set_rows_quantIi10block_q5_1Li32ETnPFvPKfPT0_EXadL_ZL23quantize_f32_q5_1_blockS2_PS0_EEEvS2_PKT_S4_llllllllllllll15HIP_vector_typeIjLj3EESC_SC_SC_SC_.kd
    .uniform_work_group_size: 1
    .uses_dynamic_stack: false
    .vgpr_count:     46
    .vgpr_spill_count: 0
    .wavefront_size: 64
  - .agpr_count:     0
    .args:
      - .actual_access:  read_only
        .address_space:  global
        .offset:         0
        .size:           8
        .value_kind:     global_buffer
      - .actual_access:  read_only
        .address_space:  global
        .offset:         8
        .size:           8
        .value_kind:     global_buffer
      - .actual_access:  write_only
        .address_space:  global
        .offset:         16
        .size:           8
        .value_kind:     global_buffer
      - .offset:         24
        .size:           8
        .value_kind:     by_value
      - .offset:         32
        .size:           8
        .value_kind:     by_value
      - .offset:         40
        .size:           8
        .value_kind:     by_value
      - .offset:         48
        .size:           8
        .value_kind:     by_value
      - .offset:         56
        .size:           8
        .value_kind:     by_value
      - .offset:         64
        .size:           8
        .value_kind:     by_value
      - .offset:         72
        .size:           8
        .value_kind:     by_value
      - .offset:         80
        .size:           8
        .value_kind:     by_value
      - .offset:         88
        .size:           8
        .value_kind:     by_value
      - .offset:         96
        .size:           8
        .value_kind:     by_value
      - .offset:         104
        .size:           8
        .value_kind:     by_value
      - .offset:         112
        .size:           8
        .value_kind:     by_value
      - .offset:         120
        .size:           8
        .value_kind:     by_value
      - .offset:         128
        .size:           8
        .value_kind:     by_value
      - .offset:         136
        .size:           12
        .value_kind:     by_value
      - .offset:         148
        .size:           12
        .value_kind:     by_value
      - .offset:         160
        .size:           12
        .value_kind:     by_value
      - .offset:         172
        .size:           12
        .value_kind:     by_value
      - .offset:         184
        .size:           12
        .value_kind:     by_value
      - .offset:         200
        .size:           4
        .value_kind:     hidden_block_count_x
      - .offset:         204
        .size:           4
        .value_kind:     hidden_block_count_y
      - .offset:         208
        .size:           4
        .value_kind:     hidden_block_count_z
      - .offset:         212
        .size:           2
        .value_kind:     hidden_group_size_x
      - .offset:         214
        .size:           2
        .value_kind:     hidden_group_size_y
      - .offset:         216
        .size:           2
        .value_kind:     hidden_group_size_z
      - .offset:         218
        .size:           2
        .value_kind:     hidden_remainder_x
      - .offset:         220
        .size:           2
        .value_kind:     hidden_remainder_y
      - .offset:         222
        .size:           2
        .value_kind:     hidden_remainder_z
      - .offset:         240
        .size:           8
        .value_kind:     hidden_global_offset_x
      - .offset:         248
        .size:           8
        .value_kind:     hidden_global_offset_y
      - .offset:         256
        .size:           8
        .value_kind:     hidden_global_offset_z
      - .offset:         264
        .size:           2
        .value_kind:     hidden_grid_dims
    .group_segment_fixed_size: 0
    .kernarg_segment_align: 8
    .kernarg_segment_size: 456
    .language:       OpenCL C
    .language_version:
      - 2
      - 0
    .max_flat_workgroup_size: 1024
    .name:           _ZL16k_set_rows_quantIi10block_q8_0Li32ETnPFvPKfPT0_EXadL_ZL23quantize_f32_q8_0_blockS2_PS0_EEEvS2_PKT_S4_llllllllllllll15HIP_vector_typeIjLj3EESC_SC_SC_SC_
    .private_segment_fixed_size: 0
    .sgpr_count:     46
    .sgpr_spill_count: 0
    .symbol:         _ZL16k_set_rows_quantIi10block_q8_0Li32ETnPFvPKfPT0_EXadL_ZL23quantize_f32_q8_0_blockS2_PS0_EEEvS2_PKT_S4_llllllllllllll15HIP_vector_typeIjLj3EESC_SC_SC_SC_.kd
    .uniform_work_group_size: 1
    .uses_dynamic_stack: false
    .vgpr_count:     46
    .vgpr_spill_count: 0
    .wavefront_size: 64
  - .agpr_count:     0
    .args:
      - .actual_access:  read_only
        .address_space:  global
        .offset:         0
        .size:           8
        .value_kind:     global_buffer
      - .actual_access:  read_only
        .address_space:  global
        .offset:         8
        .size:           8
        .value_kind:     global_buffer
      - .actual_access:  write_only
        .address_space:  global
        .offset:         16
        .size:           8
        .value_kind:     global_buffer
      - .offset:         24
        .size:           8
        .value_kind:     by_value
      - .offset:         32
        .size:           8
        .value_kind:     by_value
      - .offset:         40
        .size:           8
        .value_kind:     by_value
      - .offset:         48
        .size:           8
        .value_kind:     by_value
      - .offset:         56
        .size:           8
        .value_kind:     by_value
      - .offset:         64
        .size:           8
        .value_kind:     by_value
      - .offset:         72
        .size:           8
        .value_kind:     by_value
      - .offset:         80
        .size:           8
        .value_kind:     by_value
      - .offset:         88
        .size:           8
        .value_kind:     by_value
      - .offset:         96
        .size:           8
        .value_kind:     by_value
      - .offset:         104
        .size:           8
        .value_kind:     by_value
      - .offset:         112
        .size:           8
        .value_kind:     by_value
      - .offset:         120
        .size:           8
        .value_kind:     by_value
      - .offset:         128
        .size:           8
        .value_kind:     by_value
      - .offset:         136
        .size:           12
        .value_kind:     by_value
      - .offset:         148
        .size:           12
        .value_kind:     by_value
      - .offset:         160
        .size:           12
        .value_kind:     by_value
      - .offset:         172
        .size:           12
        .value_kind:     by_value
      - .offset:         184
        .size:           12
        .value_kind:     by_value
      - .offset:         200
        .size:           4
        .value_kind:     hidden_block_count_x
      - .offset:         204
        .size:           4
        .value_kind:     hidden_block_count_y
      - .offset:         208
        .size:           4
        .value_kind:     hidden_block_count_z
      - .offset:         212
        .size:           2
        .value_kind:     hidden_group_size_x
      - .offset:         214
        .size:           2
        .value_kind:     hidden_group_size_y
      - .offset:         216
        .size:           2
        .value_kind:     hidden_group_size_z
      - .offset:         218
        .size:           2
        .value_kind:     hidden_remainder_x
      - .offset:         220
        .size:           2
        .value_kind:     hidden_remainder_y
      - .offset:         222
        .size:           2
        .value_kind:     hidden_remainder_z
      - .offset:         240
        .size:           8
        .value_kind:     hidden_global_offset_x
      - .offset:         248
        .size:           8
        .value_kind:     hidden_global_offset_y
      - .offset:         256
        .size:           8
        .value_kind:     hidden_global_offset_z
      - .offset:         264
        .size:           2
        .value_kind:     hidden_grid_dims
    .group_segment_fixed_size: 0
    .kernarg_segment_align: 8
    .kernarg_segment_size: 456
    .language:       OpenCL C
    .language_version:
      - 2
      - 0
    .max_flat_workgroup_size: 1024
    .name:           _ZL16k_set_rows_quantIi12block_iq4_nlLi32ETnPFvPKfPT0_EXadL_ZL25quantize_f32_iq4_nl_blockS2_PS0_EEEvS2_PKT_S4_llllllllllllll15HIP_vector_typeIjLj3EESC_SC_SC_SC_
    .private_segment_fixed_size: 0
    .sgpr_count:     46
    .sgpr_spill_count: 0
    .symbol:         _ZL16k_set_rows_quantIi12block_iq4_nlLi32ETnPFvPKfPT0_EXadL_ZL25quantize_f32_iq4_nl_blockS2_PS0_EEEvS2_PKT_S4_llllllllllllll15HIP_vector_typeIjLj3EESC_SC_SC_SC_.kd
    .uniform_work_group_size: 1
    .uses_dynamic_stack: false
    .vgpr_count:     48
    .vgpr_spill_count: 0
    .wavefront_size: 64
amdhsa.target:   amdgcn-amd-amdhsa--gfx950
amdhsa.version:
  - 1
  - 2
...

	.end_amdgpu_metadata
